;; amdgpu-corpus repo=ROCm/rocSPARSE kind=compiled arch=gfx1250 opt=O3
	.amdgcn_target "amdgcn-amd-amdhsa--gfx1250"
	.amdhsa_code_object_version 6
	.section	.text._ZN9rocsparseL49gtsv_nopivot_strided_batch_pcr_pow2_shared_kernelILj2EfEEviiiPKT0_S3_S3_PS1_,"axG",@progbits,_ZN9rocsparseL49gtsv_nopivot_strided_batch_pcr_pow2_shared_kernelILj2EfEEviiiPKT0_S3_S3_PS1_,comdat
	.globl	_ZN9rocsparseL49gtsv_nopivot_strided_batch_pcr_pow2_shared_kernelILj2EfEEviiiPKT0_S3_S3_PS1_ ; -- Begin function _ZN9rocsparseL49gtsv_nopivot_strided_batch_pcr_pow2_shared_kernelILj2EfEEviiiPKT0_S3_S3_PS1_
	.p2align	8
	.type	_ZN9rocsparseL49gtsv_nopivot_strided_batch_pcr_pow2_shared_kernelILj2EfEEviiiPKT0_S3_S3_PS1_,@function
_ZN9rocsparseL49gtsv_nopivot_strided_batch_pcr_pow2_shared_kernelILj2EfEEviiiPKT0_S3_S3_PS1_: ; @_ZN9rocsparseL49gtsv_nopivot_strided_batch_pcr_pow2_shared_kernelILj2EfEEviiiPKT0_S3_S3_PS1_
; %bb.0:
	s_load_b32 s2, s[0:1], 0x8
	s_bfe_u32 s3, ttmp6, 0x4000c
	s_load_b256 s[4:11], s[0:1], 0x10
	s_add_co_i32 s3, s3, 1
	s_wait_xcnt 0x0
	s_and_b32 s0, ttmp6, 15
	s_mul_i32 s1, ttmp9, s3
	s_getreg_b32 s3, hwreg(HW_REG_IB_STS2, 6, 4)
	s_add_co_i32 s0, s0, s1
	s_cmp_eq_u32 s3, 0
	v_lshlrev_b32_e32 v2, 2, v0
	s_cselect_b32 s0, ttmp9, s0
	v_cmp_eq_u32_e32 vcc_lo, 0, v0
	s_wait_kmcnt 0x0
	v_mad_u32 v4, s2, s0, v0
	s_clause 0x3
	global_load_b32 v3, v4, s[4:5] scale_offset
	global_load_b32 v6, v4, s[6:7] scale_offset
	;; [unrolled: 1-line block ×4, first 2 shown]
	v_ashrrev_i32_e32 v5, 31, v4
	s_wait_loadcnt 0x2
	ds_store_2addr_b32 v2, v3, v6 offset1:4
	s_wait_loadcnt 0x0
	ds_store_2addr_b32 v2, v7, v8 offset0:8 offset1:16
	v_lshl_add_u64 v[0:1], v[4:5], 2, s[10:11]
	s_wait_dscnt 0x0
	; wave barrier
	s_and_saveexec_b32 s0, vcc_lo
	s_cbranch_execz .LBB0_2
; %bb.1:
	v_dual_mov_b32 v3, 0 :: v_dual_bitop2_b32 v8, 16, v2 bitop3:0x54
	v_or_b32_e32 v9, 32, v2
	ds_load_2addr_b32 v[4:5], v3 offset0:1 offset1:17
	ds_load_2addr_b32 v[6:7], v3 offset0:5 offset1:6
	ds_load_b32 v8, v8
	v_or_b32_e32 v10, 64, v2
	s_wait_dscnt 0x1
	ds_load_b32 v7, v9
	ds_load_b32 v10, v10
	v_mov_b32_e32 v9, v4
	s_wait_dscnt 0x1
	s_delay_alu instid0(VALU_DEP_1) | instskip(NEXT) | instid1(VALU_DEP_1)
	v_pk_mul_f32 v[12:13], v[6:7], v[8:9]
	v_sub_f32_e32 v9, v12, v13
	s_delay_alu instid0(VALU_DEP_1) | instskip(SKIP_1) | instid1(VALU_DEP_2)
	v_div_scale_f32 v12, null, v9, v9, 1.0
	v_div_scale_f32 v14, vcc_lo, 1.0, v9, 1.0
	v_rcp_f32_e32 v13, v12
	v_nop
	s_delay_alu instid0(TRANS32_DEP_1) | instskip(NEXT) | instid1(VALU_DEP_1)
	v_fma_f32 v11, -v12, v13, 1.0
	v_fmac_f32_e32 v13, v11, v13
	s_delay_alu instid0(VALU_DEP_1) | instskip(NEXT) | instid1(VALU_DEP_1)
	v_mul_f32_e32 v15, v14, v13
	v_fma_f32 v11, -v12, v15, v14
	s_delay_alu instid0(VALU_DEP_1) | instskip(SKIP_1) | instid1(VALU_DEP_2)
	v_dual_fmac_f32 v15, v11, v13 :: v_dual_mov_b32 v11, v5
	v_dual_mov_b32 v5, v7 :: v_dual_mov_b32 v7, v8
	v_fma_f32 v12, -v12, v15, v14
	s_wait_dscnt 0x0
	s_delay_alu instid0(VALU_DEP_2) | instskip(NEXT) | instid1(VALU_DEP_2)
	v_pk_mul_f32 v[4:5], v[4:5], v[10:11]
	v_div_fmas_f32 v8, v12, v13, v15
	s_delay_alu instid0(VALU_DEP_2) | instskip(NEXT) | instid1(VALU_DEP_2)
	v_pk_fma_f32 v[4:5], v[6:7], v[10:11], v[4:5] op_sel:[0,0,1] op_sel_hi:[1,1,0] neg_lo:[0,0,1] neg_hi:[0,0,1]
	v_div_fixup_f32 v8, v8, v9, 1.0
	s_delay_alu instid0(VALU_DEP_1)
	v_pk_mul_f32 v[4:5], v[8:9], v[4:5] op_sel_hi:[0,1]
	ds_store_b64 v3, v[4:5] offset:48
.LBB0_2:
	s_or_b32 exec_lo, exec_lo, s0
	s_wait_dscnt 0x0
	; wave barrier
	ds_load_b32 v2, v2 offset:48
	s_wait_dscnt 0x0
	global_store_b32 v[0:1], v2, off
	s_endpgm
	.section	.rodata,"a",@progbits
	.p2align	6, 0x0
	.amdhsa_kernel _ZN9rocsparseL49gtsv_nopivot_strided_batch_pcr_pow2_shared_kernelILj2EfEEviiiPKT0_S3_S3_PS1_
		.amdhsa_group_segment_fixed_size 76
		.amdhsa_private_segment_fixed_size 0
		.amdhsa_kernarg_size 48
		.amdhsa_user_sgpr_count 2
		.amdhsa_user_sgpr_dispatch_ptr 0
		.amdhsa_user_sgpr_queue_ptr 0
		.amdhsa_user_sgpr_kernarg_segment_ptr 1
		.amdhsa_user_sgpr_dispatch_id 0
		.amdhsa_user_sgpr_kernarg_preload_length 0
		.amdhsa_user_sgpr_kernarg_preload_offset 0
		.amdhsa_user_sgpr_private_segment_size 0
		.amdhsa_wavefront_size32 1
		.amdhsa_uses_dynamic_stack 0
		.amdhsa_enable_private_segment 0
		.amdhsa_system_sgpr_workgroup_id_x 1
		.amdhsa_system_sgpr_workgroup_id_y 0
		.amdhsa_system_sgpr_workgroup_id_z 0
		.amdhsa_system_sgpr_workgroup_info 0
		.amdhsa_system_vgpr_workitem_id 0
		.amdhsa_next_free_vgpr 16
		.amdhsa_next_free_sgpr 12
		.amdhsa_named_barrier_count 0
		.amdhsa_reserve_vcc 1
		.amdhsa_float_round_mode_32 0
		.amdhsa_float_round_mode_16_64 0
		.amdhsa_float_denorm_mode_32 3
		.amdhsa_float_denorm_mode_16_64 3
		.amdhsa_fp16_overflow 0
		.amdhsa_memory_ordered 1
		.amdhsa_forward_progress 1
		.amdhsa_inst_pref_size 4
		.amdhsa_round_robin_scheduling 0
		.amdhsa_exception_fp_ieee_invalid_op 0
		.amdhsa_exception_fp_denorm_src 0
		.amdhsa_exception_fp_ieee_div_zero 0
		.amdhsa_exception_fp_ieee_overflow 0
		.amdhsa_exception_fp_ieee_underflow 0
		.amdhsa_exception_fp_ieee_inexact 0
		.amdhsa_exception_int_div_zero 0
	.end_amdhsa_kernel
	.section	.text._ZN9rocsparseL49gtsv_nopivot_strided_batch_pcr_pow2_shared_kernelILj2EfEEviiiPKT0_S3_S3_PS1_,"axG",@progbits,_ZN9rocsparseL49gtsv_nopivot_strided_batch_pcr_pow2_shared_kernelILj2EfEEviiiPKT0_S3_S3_PS1_,comdat
.Lfunc_end0:
	.size	_ZN9rocsparseL49gtsv_nopivot_strided_batch_pcr_pow2_shared_kernelILj2EfEEviiiPKT0_S3_S3_PS1_, .Lfunc_end0-_ZN9rocsparseL49gtsv_nopivot_strided_batch_pcr_pow2_shared_kernelILj2EfEEviiiPKT0_S3_S3_PS1_
                                        ; -- End function
	.set _ZN9rocsparseL49gtsv_nopivot_strided_batch_pcr_pow2_shared_kernelILj2EfEEviiiPKT0_S3_S3_PS1_.num_vgpr, 16
	.set _ZN9rocsparseL49gtsv_nopivot_strided_batch_pcr_pow2_shared_kernelILj2EfEEviiiPKT0_S3_S3_PS1_.num_agpr, 0
	.set _ZN9rocsparseL49gtsv_nopivot_strided_batch_pcr_pow2_shared_kernelILj2EfEEviiiPKT0_S3_S3_PS1_.numbered_sgpr, 12
	.set _ZN9rocsparseL49gtsv_nopivot_strided_batch_pcr_pow2_shared_kernelILj2EfEEviiiPKT0_S3_S3_PS1_.num_named_barrier, 0
	.set _ZN9rocsparseL49gtsv_nopivot_strided_batch_pcr_pow2_shared_kernelILj2EfEEviiiPKT0_S3_S3_PS1_.private_seg_size, 0
	.set _ZN9rocsparseL49gtsv_nopivot_strided_batch_pcr_pow2_shared_kernelILj2EfEEviiiPKT0_S3_S3_PS1_.uses_vcc, 1
	.set _ZN9rocsparseL49gtsv_nopivot_strided_batch_pcr_pow2_shared_kernelILj2EfEEviiiPKT0_S3_S3_PS1_.uses_flat_scratch, 0
	.set _ZN9rocsparseL49gtsv_nopivot_strided_batch_pcr_pow2_shared_kernelILj2EfEEviiiPKT0_S3_S3_PS1_.has_dyn_sized_stack, 0
	.set _ZN9rocsparseL49gtsv_nopivot_strided_batch_pcr_pow2_shared_kernelILj2EfEEviiiPKT0_S3_S3_PS1_.has_recursion, 0
	.set _ZN9rocsparseL49gtsv_nopivot_strided_batch_pcr_pow2_shared_kernelILj2EfEEviiiPKT0_S3_S3_PS1_.has_indirect_call, 0
	.section	.AMDGPU.csdata,"",@progbits
; Kernel info:
; codeLenInByte = 460
; TotalNumSgprs: 14
; NumVgprs: 16
; ScratchSize: 0
; MemoryBound: 0
; FloatMode: 240
; IeeeMode: 1
; LDSByteSize: 76 bytes/workgroup (compile time only)
; SGPRBlocks: 0
; VGPRBlocks: 0
; NumSGPRsForWavesPerEU: 14
; NumVGPRsForWavesPerEU: 16
; NamedBarCnt: 0
; Occupancy: 16
; WaveLimiterHint : 0
; COMPUTE_PGM_RSRC2:SCRATCH_EN: 0
; COMPUTE_PGM_RSRC2:USER_SGPR: 2
; COMPUTE_PGM_RSRC2:TRAP_HANDLER: 0
; COMPUTE_PGM_RSRC2:TGID_X_EN: 1
; COMPUTE_PGM_RSRC2:TGID_Y_EN: 0
; COMPUTE_PGM_RSRC2:TGID_Z_EN: 0
; COMPUTE_PGM_RSRC2:TIDIG_COMP_CNT: 0
	.section	.text._ZN9rocsparseL49gtsv_nopivot_strided_batch_pcr_pow2_shared_kernelILj4EfEEviiiPKT0_S3_S3_PS1_,"axG",@progbits,_ZN9rocsparseL49gtsv_nopivot_strided_batch_pcr_pow2_shared_kernelILj4EfEEviiiPKT0_S3_S3_PS1_,comdat
	.globl	_ZN9rocsparseL49gtsv_nopivot_strided_batch_pcr_pow2_shared_kernelILj4EfEEviiiPKT0_S3_S3_PS1_ ; -- Begin function _ZN9rocsparseL49gtsv_nopivot_strided_batch_pcr_pow2_shared_kernelILj4EfEEviiiPKT0_S3_S3_PS1_
	.p2align	8
	.type	_ZN9rocsparseL49gtsv_nopivot_strided_batch_pcr_pow2_shared_kernelILj4EfEEviiiPKT0_S3_S3_PS1_,@function
_ZN9rocsparseL49gtsv_nopivot_strided_batch_pcr_pow2_shared_kernelILj4EfEEviiiPKT0_S3_S3_PS1_: ; @_ZN9rocsparseL49gtsv_nopivot_strided_batch_pcr_pow2_shared_kernelILj4EfEEviiiPKT0_S3_S3_PS1_
; %bb.0:
	s_load_b32 s2, s[0:1], 0x8
	s_bfe_u32 s3, ttmp6, 0x4000c
	s_load_b256 s[4:11], s[0:1], 0x10
	s_add_co_i32 s3, s3, 1
	s_wait_xcnt 0x0
	s_and_b32 s0, ttmp6, 15
	s_mul_i32 s1, ttmp9, s3
	s_getreg_b32 s3, hwreg(HW_REG_IB_STS2, 6, 4)
	s_add_co_i32 s0, s0, s1
	s_cmp_eq_u32 s3, 0
	v_sub_nc_u32_e64 v7, v0, 1 clamp
	s_cselect_b32 s0, ttmp9, s0
	v_min_u32_e32 v8, 2, v0
	s_delay_alu instid0(VALU_DEP_2) | instskip(NEXT) | instid1(VALU_DEP_2)
	v_dual_lshlrev_b32 v2, 2, v0 :: v_dual_lshlrev_b32 v14, 2, v7
	v_lshlrev_b32_e32 v16, 2, v8
	s_wait_kmcnt 0x0
	v_mad_u32 v4, s2, s0, v0
	s_clause 0x3
	global_load_b32 v1, v4, s[4:5] scale_offset
	global_load_b32 v3, v4, s[6:7] scale_offset
	global_load_b32 v5, v4, s[8:9] scale_offset
	global_load_b32 v6, v4, s[10:11] scale_offset
	s_wait_loadcnt 0x2
	ds_store_2addr_b32 v2, v1, v3 offset1:8
	s_wait_loadcnt 0x0
	ds_store_2addr_b32 v2, v5, v6 offset0:16 offset1:32
	s_wait_dscnt 0x0
	; wave barrier
	ds_load_2addr_b32 v[6:7], v14 offset1:8
	ds_load_2addr_b32 v[8:9], v2 offset1:8
	ds_load_2addr_b32 v[10:11], v2 offset0:16 offset1:32
	ds_load_2addr_b32 v[12:13], v16 offset0:1 offset1:9
	s_wait_dscnt 0x2
	v_div_scale_f32 v1, null, v7, v7, v8
	s_wait_dscnt 0x0
	v_div_scale_f32 v3, null, v13, v13, v10
	v_div_scale_f32 v19, vcc_lo, v8, v7, v8
	s_delay_alu instid0(VALU_DEP_3) | instskip(NEXT) | instid1(VALU_DEP_2)
	v_rcp_f32_e32 v5, v1
	v_rcp_f32_e32 v18, v3
	v_div_scale_f32 v20, s0, v10, v13, v10
	s_delay_alu instid0(TRANS32_DEP_2) | instskip(NEXT) | instid1(TRANS32_DEP_1)
	v_fma_f32 v15, -v1, v5, 1.0
	v_fma_f32 v17, -v3, v18, 1.0
	s_delay_alu instid0(VALU_DEP_1) | instskip(SKIP_2) | instid1(VALU_DEP_1)
	v_dual_fmac_f32 v5, v15, v5 :: v_dual_fmac_f32 v18, v17, v18
	ds_load_2addr_b32 v[14:15], v14 offset0:16 offset1:32
	v_dual_mul_f32 v21, v19, v5 :: v_dual_mul_f32 v22, v20, v18
	v_dual_fma_f32 v17, -v1, v21, v19 :: v_dual_fma_f32 v23, -v3, v22, v20
	s_delay_alu instid0(VALU_DEP_1) | instskip(SKIP_3) | instid1(VALU_DEP_1)
	v_dual_fmac_f32 v21, v17, v5 :: v_dual_fmac_f32 v22, v23, v18
	ds_load_2addr_b32 v[16:17], v16 offset0:17 offset1:33
	s_wait_dscnt 0x0
	; wave barrier
	v_fma_f32 v1, -v1, v21, v19
	v_div_fmas_f32 v1, v1, v5, v21
	s_mov_b32 vcc_lo, s0
	v_ashrrev_i32_e32 v5, 31, v4
	s_delay_alu instid0(VALU_DEP_2) | instskip(NEXT) | instid1(VALU_DEP_1)
	v_div_fixup_f32 v1, v1, v7, v8
	v_dual_fma_f32 v3, -v3, v22, v20 :: v_dual_fma_f32 v7, -v1, v15, v11
	s_delay_alu instid0(VALU_DEP_1) | instskip(SKIP_1) | instid1(VALU_DEP_2)
	v_div_fmas_f32 v3, v3, v18, v22
	v_cmp_gt_u32_e32 vcc_lo, 2, v0
	v_div_fixup_f32 v0, v3, v13, v10
	v_fma_f32 v3, -v1, v14, v9
	s_delay_alu instid0(VALU_DEP_2) | instskip(NEXT) | instid1(VALU_DEP_2)
	v_dual_mul_f32 v6, v1, -v6 :: v_dual_mul_f32 v8, v0, -v16
	v_fma_f32 v3, -v0, v12, v3
	v_fma_f32 v7, -v0, v17, v7
	v_lshl_add_u64 v[0:1], v[4:5], 2, s[10:11]
	ds_store_2addr_b32 v2, v6, v3 offset1:8
	ds_store_2addr_b32 v2, v8, v7 offset0:16 offset1:32
	s_wait_dscnt 0x0
	; wave barrier
	s_and_saveexec_b32 s0, vcc_lo
	s_cbranch_execz .LBB1_2
; %bb.1:
	v_or_b32_e32 v3, 64, v2
	v_or_b32_e32 v4, 32, v2
	;; [unrolled: 1-line block ×3, first 2 shown]
	ds_load_b32 v3, v3
	ds_load_b32 v8, v2 offset:8
	ds_load_2addr_b32 v[4:5], v4 offset1:2
	s_wait_dscnt 0x1
	v_mul_f32_e32 v6, v3, v8
	s_wait_dscnt 0x0
	s_delay_alu instid0(VALU_DEP_1) | instskip(NEXT) | instid1(VALU_DEP_1)
	v_fma_f32 v9, v5, v4, -v6
	v_div_scale_f32 v10, null, v9, v9, 1.0
	v_div_scale_f32 v12, vcc_lo, 1.0, v9, 1.0
	s_delay_alu instid0(VALU_DEP_2) | instskip(SKIP_1) | instid1(TRANS32_DEP_1)
	v_rcp_f32_e32 v11, v10
	v_nop
	v_fma_f32 v6, -v10, v11, 1.0
	s_delay_alu instid0(VALU_DEP_1) | instskip(SKIP_3) | instid1(VALU_DEP_1)
	v_fmac_f32_e32 v11, v6, v11
	ds_load_2addr_b32 v[6:7], v7 offset1:2
	s_wait_dscnt 0x0
	v_dual_mul_f32 v8, v8, v6 :: v_dual_mul_f32 v3, v3, v7
	v_fma_f32 v4, v4, v7, -v8
	s_delay_alu instid0(VALU_DEP_2) | instskip(NEXT) | instid1(VALU_DEP_1)
	v_dual_mul_f32 v13, v12, v11 :: v_dual_fma_f32 v3, v5, v6, -v3
	v_fma_f32 v14, -v10, v13, v12
	s_delay_alu instid0(VALU_DEP_1) | instskip(NEXT) | instid1(VALU_DEP_1)
	v_fmac_f32_e32 v13, v14, v11
	v_fma_f32 v10, -v10, v13, v12
	s_delay_alu instid0(VALU_DEP_1) | instskip(NEXT) | instid1(VALU_DEP_1)
	v_div_fmas_f32 v10, v10, v11, v13
	v_div_fixup_f32 v5, v10, v9, 1.0
	s_delay_alu instid0(VALU_DEP_1)
	v_dual_mul_f32 v3, v5, v3 :: v_dual_mul_f32 v4, v5, v4
	ds_store_2addr_b32 v2, v3, v4 offset0:24 offset1:26
.LBB1_2:
	s_or_b32 exec_lo, exec_lo, s0
	s_wait_dscnt 0x0
	; wave barrier
	ds_load_b32 v2, v2 offset:96
	s_wait_dscnt 0x0
	global_store_b32 v[0:1], v2, off
	s_endpgm
	.section	.rodata,"a",@progbits
	.p2align	6, 0x0
	.amdhsa_kernel _ZN9rocsparseL49gtsv_nopivot_strided_batch_pcr_pow2_shared_kernelILj4EfEEviiiPKT0_S3_S3_PS1_
		.amdhsa_group_segment_fixed_size 148
		.amdhsa_private_segment_fixed_size 0
		.amdhsa_kernarg_size 48
		.amdhsa_user_sgpr_count 2
		.amdhsa_user_sgpr_dispatch_ptr 0
		.amdhsa_user_sgpr_queue_ptr 0
		.amdhsa_user_sgpr_kernarg_segment_ptr 1
		.amdhsa_user_sgpr_dispatch_id 0
		.amdhsa_user_sgpr_kernarg_preload_length 0
		.amdhsa_user_sgpr_kernarg_preload_offset 0
		.amdhsa_user_sgpr_private_segment_size 0
		.amdhsa_wavefront_size32 1
		.amdhsa_uses_dynamic_stack 0
		.amdhsa_enable_private_segment 0
		.amdhsa_system_sgpr_workgroup_id_x 1
		.amdhsa_system_sgpr_workgroup_id_y 0
		.amdhsa_system_sgpr_workgroup_id_z 0
		.amdhsa_system_sgpr_workgroup_info 0
		.amdhsa_system_vgpr_workitem_id 0
		.amdhsa_next_free_vgpr 24
		.amdhsa_next_free_sgpr 12
		.amdhsa_named_barrier_count 0
		.amdhsa_reserve_vcc 1
		.amdhsa_float_round_mode_32 0
		.amdhsa_float_round_mode_16_64 0
		.amdhsa_float_denorm_mode_32 3
		.amdhsa_float_denorm_mode_16_64 3
		.amdhsa_fp16_overflow 0
		.amdhsa_memory_ordered 1
		.amdhsa_forward_progress 1
		.amdhsa_inst_pref_size 6
		.amdhsa_round_robin_scheduling 0
		.amdhsa_exception_fp_ieee_invalid_op 0
		.amdhsa_exception_fp_denorm_src 0
		.amdhsa_exception_fp_ieee_div_zero 0
		.amdhsa_exception_fp_ieee_overflow 0
		.amdhsa_exception_fp_ieee_underflow 0
		.amdhsa_exception_fp_ieee_inexact 0
		.amdhsa_exception_int_div_zero 0
	.end_amdhsa_kernel
	.section	.text._ZN9rocsparseL49gtsv_nopivot_strided_batch_pcr_pow2_shared_kernelILj4EfEEviiiPKT0_S3_S3_PS1_,"axG",@progbits,_ZN9rocsparseL49gtsv_nopivot_strided_batch_pcr_pow2_shared_kernelILj4EfEEviiiPKT0_S3_S3_PS1_,comdat
.Lfunc_end1:
	.size	_ZN9rocsparseL49gtsv_nopivot_strided_batch_pcr_pow2_shared_kernelILj4EfEEviiiPKT0_S3_S3_PS1_, .Lfunc_end1-_ZN9rocsparseL49gtsv_nopivot_strided_batch_pcr_pow2_shared_kernelILj4EfEEviiiPKT0_S3_S3_PS1_
                                        ; -- End function
	.set _ZN9rocsparseL49gtsv_nopivot_strided_batch_pcr_pow2_shared_kernelILj4EfEEviiiPKT0_S3_S3_PS1_.num_vgpr, 24
	.set _ZN9rocsparseL49gtsv_nopivot_strided_batch_pcr_pow2_shared_kernelILj4EfEEviiiPKT0_S3_S3_PS1_.num_agpr, 0
	.set _ZN9rocsparseL49gtsv_nopivot_strided_batch_pcr_pow2_shared_kernelILj4EfEEviiiPKT0_S3_S3_PS1_.numbered_sgpr, 12
	.set _ZN9rocsparseL49gtsv_nopivot_strided_batch_pcr_pow2_shared_kernelILj4EfEEviiiPKT0_S3_S3_PS1_.num_named_barrier, 0
	.set _ZN9rocsparseL49gtsv_nopivot_strided_batch_pcr_pow2_shared_kernelILj4EfEEviiiPKT0_S3_S3_PS1_.private_seg_size, 0
	.set _ZN9rocsparseL49gtsv_nopivot_strided_batch_pcr_pow2_shared_kernelILj4EfEEviiiPKT0_S3_S3_PS1_.uses_vcc, 1
	.set _ZN9rocsparseL49gtsv_nopivot_strided_batch_pcr_pow2_shared_kernelILj4EfEEviiiPKT0_S3_S3_PS1_.uses_flat_scratch, 0
	.set _ZN9rocsparseL49gtsv_nopivot_strided_batch_pcr_pow2_shared_kernelILj4EfEEviiiPKT0_S3_S3_PS1_.has_dyn_sized_stack, 0
	.set _ZN9rocsparseL49gtsv_nopivot_strided_batch_pcr_pow2_shared_kernelILj4EfEEviiiPKT0_S3_S3_PS1_.has_recursion, 0
	.set _ZN9rocsparseL49gtsv_nopivot_strided_batch_pcr_pow2_shared_kernelILj4EfEEviiiPKT0_S3_S3_PS1_.has_indirect_call, 0
	.section	.AMDGPU.csdata,"",@progbits
; Kernel info:
; codeLenInByte = 748
; TotalNumSgprs: 14
; NumVgprs: 24
; ScratchSize: 0
; MemoryBound: 0
; FloatMode: 240
; IeeeMode: 1
; LDSByteSize: 148 bytes/workgroup (compile time only)
; SGPRBlocks: 0
; VGPRBlocks: 1
; NumSGPRsForWavesPerEU: 14
; NumVGPRsForWavesPerEU: 24
; NamedBarCnt: 0
; Occupancy: 16
; WaveLimiterHint : 0
; COMPUTE_PGM_RSRC2:SCRATCH_EN: 0
; COMPUTE_PGM_RSRC2:USER_SGPR: 2
; COMPUTE_PGM_RSRC2:TRAP_HANDLER: 0
; COMPUTE_PGM_RSRC2:TGID_X_EN: 1
; COMPUTE_PGM_RSRC2:TGID_Y_EN: 0
; COMPUTE_PGM_RSRC2:TGID_Z_EN: 0
; COMPUTE_PGM_RSRC2:TIDIG_COMP_CNT: 0
	.section	.text._ZN9rocsparseL49gtsv_nopivot_strided_batch_pcr_pow2_shared_kernelILj8EfEEviiiPKT0_S3_S3_PS1_,"axG",@progbits,_ZN9rocsparseL49gtsv_nopivot_strided_batch_pcr_pow2_shared_kernelILj8EfEEviiiPKT0_S3_S3_PS1_,comdat
	.globl	_ZN9rocsparseL49gtsv_nopivot_strided_batch_pcr_pow2_shared_kernelILj8EfEEviiiPKT0_S3_S3_PS1_ ; -- Begin function _ZN9rocsparseL49gtsv_nopivot_strided_batch_pcr_pow2_shared_kernelILj8EfEEviiiPKT0_S3_S3_PS1_
	.p2align	8
	.type	_ZN9rocsparseL49gtsv_nopivot_strided_batch_pcr_pow2_shared_kernelILj8EfEEviiiPKT0_S3_S3_PS1_,@function
_ZN9rocsparseL49gtsv_nopivot_strided_batch_pcr_pow2_shared_kernelILj8EfEEviiiPKT0_S3_S3_PS1_: ; @_ZN9rocsparseL49gtsv_nopivot_strided_batch_pcr_pow2_shared_kernelILj8EfEEviiiPKT0_S3_S3_PS1_
; %bb.0:
	s_load_b32 s2, s[0:1], 0x8
	s_bfe_u32 s3, ttmp6, 0x4000c
	s_load_b256 s[4:11], s[0:1], 0x10
	s_add_co_i32 s3, s3, 1
	s_wait_xcnt 0x0
	s_and_b32 s0, ttmp6, 15
	s_mul_i32 s1, ttmp9, s3
	s_getreg_b32 s3, hwreg(HW_REG_IB_STS2, 6, 4)
	s_add_co_i32 s0, s0, s1
	s_cmp_eq_u32 s3, 0
	v_sub_nc_u32_e64 v7, v0, 1 clamp
	s_cselect_b32 s0, ttmp9, s0
	v_min_u32_e32 v8, 6, v0
	s_delay_alu instid0(VALU_DEP_2) | instskip(NEXT) | instid1(VALU_DEP_2)
	v_dual_lshlrev_b32 v2, 2, v0 :: v_dual_lshlrev_b32 v14, 2, v7
	v_lshlrev_b32_e32 v16, 2, v8
	s_wait_kmcnt 0x0
	v_mad_u32 v4, s2, s0, v0
	s_clause 0x3
	global_load_b32 v1, v4, s[4:5] scale_offset
	global_load_b32 v3, v4, s[6:7] scale_offset
	;; [unrolled: 1-line block ×4, first 2 shown]
	s_wait_loadcnt 0x2
	ds_store_2addr_b32 v2, v1, v3 offset1:12
	s_wait_loadcnt 0x0
	ds_store_2addr_b32 v2, v5, v6 offset0:24 offset1:48
	s_wait_dscnt 0x0
	; wave barrier
	ds_load_2addr_b32 v[6:7], v14 offset1:12
	ds_load_2addr_b32 v[8:9], v2 offset1:12
	ds_load_2addr_b32 v[10:11], v2 offset0:24 offset1:48
	ds_load_2addr_b32 v[12:13], v16 offset0:1 offset1:13
	s_wait_dscnt 0x2
	v_div_scale_f32 v1, null, v7, v7, v8
	s_wait_dscnt 0x0
	v_div_scale_f32 v3, null, v13, v13, v10
	v_div_scale_f32 v19, vcc_lo, v8, v7, v8
	s_delay_alu instid0(VALU_DEP_3) | instskip(NEXT) | instid1(VALU_DEP_2)
	v_rcp_f32_e32 v5, v1
	v_rcp_f32_e32 v18, v3
	v_div_scale_f32 v20, s0, v10, v13, v10
	s_delay_alu instid0(TRANS32_DEP_2) | instskip(NEXT) | instid1(TRANS32_DEP_1)
	v_fma_f32 v15, -v1, v5, 1.0
	v_fma_f32 v17, -v3, v18, 1.0
	s_delay_alu instid0(VALU_DEP_1) | instskip(SKIP_2) | instid1(VALU_DEP_1)
	v_dual_fmac_f32 v5, v15, v5 :: v_dual_fmac_f32 v18, v17, v18
	ds_load_2addr_b32 v[14:15], v14 offset0:24 offset1:48
	v_dual_mul_f32 v21, v19, v5 :: v_dual_mul_f32 v22, v20, v18
	v_dual_fma_f32 v17, -v1, v21, v19 :: v_dual_fma_f32 v23, -v3, v22, v20
	s_delay_alu instid0(VALU_DEP_1) | instskip(SKIP_3) | instid1(VALU_DEP_1)
	v_dual_fmac_f32 v21, v17, v5 :: v_dual_fmac_f32 v22, v23, v18
	ds_load_2addr_b32 v[16:17], v16 offset0:25 offset1:49
	s_wait_dscnt 0x0
	; wave barrier
	v_fma_f32 v1, -v1, v21, v19
	v_div_fmas_f32 v1, v1, v5, v21
	s_mov_b32 vcc_lo, s0
	v_sub_nc_u32_e64 v5, v0, 2 clamp
	s_delay_alu instid0(VALU_DEP_2) | instskip(SKIP_2) | instid1(VALU_DEP_3)
	v_div_fixup_f32 v1, v1, v7, v8
	v_fma_f32 v3, -v3, v22, v20
	v_min_u32_e32 v7, 5, v0
	v_dual_lshlrev_b32 v5, 2, v5 :: v_dual_fma_f32 v8, -v1, v14, v9
	v_fma_f32 v9, -v1, v15, v11
	s_delay_alu instid0(VALU_DEP_4) | instskip(NEXT) | instid1(VALU_DEP_1)
	v_div_fmas_f32 v3, v3, v18, v22
	v_div_fixup_f32 v3, v3, v13, v10
	s_delay_alu instid0(VALU_DEP_1) | instskip(NEXT) | instid1(VALU_DEP_4)
	v_dual_mul_f32 v1, v1, -v6 :: v_dual_mul_f32 v6, v3, -v16
	v_dual_fma_f32 v8, -v3, v12, v8 :: v_dual_fma_f32 v3, -v3, v17, v9
	v_lshlrev_b32_e32 v16, 2, v7
	ds_store_2addr_b32 v2, v1, v8 offset1:12
	ds_store_2addr_b32 v2, v6, v3 offset0:24 offset1:48
	s_wait_dscnt 0x0
	; wave barrier
	ds_load_2addr_b32 v[6:7], v5 offset1:12
	ds_load_2addr_b32 v[8:9], v2 offset1:12
	ds_load_2addr_b32 v[10:11], v2 offset0:24 offset1:48
	ds_load_2addr_b32 v[12:13], v16 offset0:2 offset1:14
	s_wait_dscnt 0x2
	v_div_scale_f32 v1, null, v7, v7, v8
	s_wait_dscnt 0x0
	v_div_scale_f32 v3, null, v13, v13, v10
	v_div_scale_f32 v20, vcc_lo, v8, v7, v8
	s_delay_alu instid0(VALU_DEP_3) | instskip(NEXT) | instid1(VALU_DEP_2)
	v_rcp_f32_e32 v18, v1
	v_rcp_f32_e32 v19, v3
	v_div_scale_f32 v21, s0, v10, v13, v10
	s_delay_alu instid0(TRANS32_DEP_2) | instskip(NEXT) | instid1(TRANS32_DEP_1)
	v_fma_f32 v14, -v1, v18, 1.0
	v_fma_f32 v15, -v3, v19, 1.0
	s_delay_alu instid0(VALU_DEP_1) | instskip(SKIP_3) | instid1(VALU_DEP_1)
	v_dual_fmac_f32 v18, v14, v18 :: v_dual_fmac_f32 v19, v15, v19
	ds_load_2addr_b32 v[14:15], v5 offset0:24 offset1:48
	v_dual_mul_f32 v22, v20, v18 :: v_dual_ashrrev_i32 v5, 31, v4
	v_mul_f32_e32 v23, v21, v19
	v_dual_fma_f32 v17, -v1, v22, v20 :: v_dual_fma_f32 v24, -v3, v23, v21
	s_delay_alu instid0(VALU_DEP_1) | instskip(SKIP_3) | instid1(VALU_DEP_1)
	v_dual_fmac_f32 v22, v17, v18 :: v_dual_fmac_f32 v23, v24, v19
	ds_load_2addr_b32 v[16:17], v16 offset0:26 offset1:50
	s_wait_dscnt 0x0
	; wave barrier
	v_dual_fma_f32 v1, -v1, v22, v20 :: v_dual_fma_f32 v3, -v3, v23, v21
	v_div_fmas_f32 v1, v1, v18, v22
	s_mov_b32 vcc_lo, s0
	s_delay_alu instid0(VALU_DEP_2) | instskip(SKIP_1) | instid1(VALU_DEP_3)
	v_div_fmas_f32 v3, v3, v19, v23
	v_cmp_gt_u32_e32 vcc_lo, 4, v0
	v_div_fixup_f32 v1, v1, v7, v8
	s_delay_alu instid0(VALU_DEP_3) | instskip(NEXT) | instid1(VALU_DEP_2)
	v_div_fixup_f32 v0, v3, v13, v10
	v_dual_fma_f32 v3, -v1, v14, v9 :: v_dual_fma_f32 v7, -v1, v15, v11
	s_delay_alu instid0(VALU_DEP_2) | instskip(NEXT) | instid1(VALU_DEP_2)
	v_dual_mul_f32 v6, v1, -v6 :: v_dual_mul_f32 v8, v0, -v16
	v_fma_f32 v3, -v0, v12, v3
	s_delay_alu instid0(VALU_DEP_3)
	v_fma_f32 v7, -v0, v17, v7
	v_lshl_add_u64 v[0:1], v[4:5], 2, s[10:11]
	ds_store_2addr_b32 v2, v6, v3 offset1:12
	ds_store_2addr_b32 v2, v8, v7 offset0:24 offset1:48
	s_wait_dscnt 0x0
	; wave barrier
	s_and_saveexec_b32 s0, vcc_lo
	s_cbranch_execz .LBB2_2
; %bb.1:
	v_or_b32_e32 v3, 0x60, v2
	v_add_nc_u32_e32 v4, 48, v2
	v_or_b32_e32 v7, 0xc0, v2
	ds_load_b32 v3, v3
	ds_load_b32 v8, v2 offset:16
	ds_load_2addr_b32 v[4:5], v4 offset1:4
	s_wait_dscnt 0x1
	v_mul_f32_e32 v6, v3, v8
	s_wait_dscnt 0x0
	s_delay_alu instid0(VALU_DEP_1) | instskip(NEXT) | instid1(VALU_DEP_1)
	v_fma_f32 v9, v5, v4, -v6
	v_div_scale_f32 v10, null, v9, v9, 1.0
	s_delay_alu instid0(VALU_DEP_1) | instskip(SKIP_1) | instid1(TRANS32_DEP_1)
	v_rcp_f32_e32 v11, v10
	v_nop
	v_fma_f32 v6, -v10, v11, 1.0
	s_delay_alu instid0(VALU_DEP_1) | instskip(SKIP_4) | instid1(VALU_DEP_2)
	v_fmac_f32_e32 v11, v6, v11
	ds_load_2addr_b32 v[6:7], v7 offset1:4
	v_div_scale_f32 v12, vcc_lo, 1.0, v9, 1.0
	s_wait_dscnt 0x0
	v_mul_f32_e32 v3, v3, v7
	v_mul_f32_e32 v13, v12, v11
	s_delay_alu instid0(VALU_DEP_2) | instskip(NEXT) | instid1(VALU_DEP_2)
	v_dual_mul_f32 v8, v8, v6 :: v_dual_fma_f32 v3, v5, v6, -v3
	v_fma_f32 v14, -v10, v13, v12
	s_delay_alu instid0(VALU_DEP_2) | instskip(NEXT) | instid1(VALU_DEP_2)
	v_fma_f32 v4, v4, v7, -v8
	v_fmac_f32_e32 v13, v14, v11
	s_delay_alu instid0(VALU_DEP_1) | instskip(NEXT) | instid1(VALU_DEP_1)
	v_fma_f32 v10, -v10, v13, v12
	v_div_fmas_f32 v10, v10, v11, v13
	s_delay_alu instid0(VALU_DEP_1) | instskip(NEXT) | instid1(VALU_DEP_1)
	v_div_fixup_f32 v5, v10, v9, 1.0
	v_dual_mul_f32 v3, v5, v3 :: v_dual_mul_f32 v4, v5, v4
	ds_store_2addr_b32 v2, v3, v4 offset0:36 offset1:40
.LBB2_2:
	s_or_b32 exec_lo, exec_lo, s0
	s_wait_dscnt 0x0
	; wave barrier
	ds_load_b32 v2, v2 offset:144
	s_wait_dscnt 0x0
	global_store_b32 v[0:1], v2, off
	s_endpgm
	.section	.rodata,"a",@progbits
	.p2align	6, 0x0
	.amdhsa_kernel _ZN9rocsparseL49gtsv_nopivot_strided_batch_pcr_pow2_shared_kernelILj8EfEEviiiPKT0_S3_S3_PS1_
		.amdhsa_group_segment_fixed_size 228
		.amdhsa_private_segment_fixed_size 0
		.amdhsa_kernarg_size 48
		.amdhsa_user_sgpr_count 2
		.amdhsa_user_sgpr_dispatch_ptr 0
		.amdhsa_user_sgpr_queue_ptr 0
		.amdhsa_user_sgpr_kernarg_segment_ptr 1
		.amdhsa_user_sgpr_dispatch_id 0
		.amdhsa_user_sgpr_kernarg_preload_length 0
		.amdhsa_user_sgpr_kernarg_preload_offset 0
		.amdhsa_user_sgpr_private_segment_size 0
		.amdhsa_wavefront_size32 1
		.amdhsa_uses_dynamic_stack 0
		.amdhsa_enable_private_segment 0
		.amdhsa_system_sgpr_workgroup_id_x 1
		.amdhsa_system_sgpr_workgroup_id_y 0
		.amdhsa_system_sgpr_workgroup_id_z 0
		.amdhsa_system_sgpr_workgroup_info 0
		.amdhsa_system_vgpr_workitem_id 0
		.amdhsa_next_free_vgpr 25
		.amdhsa_next_free_sgpr 12
		.amdhsa_named_barrier_count 0
		.amdhsa_reserve_vcc 1
		.amdhsa_float_round_mode_32 0
		.amdhsa_float_round_mode_16_64 0
		.amdhsa_float_denorm_mode_32 3
		.amdhsa_float_denorm_mode_16_64 3
		.amdhsa_fp16_overflow 0
		.amdhsa_memory_ordered 1
		.amdhsa_forward_progress 1
		.amdhsa_inst_pref_size 9
		.amdhsa_round_robin_scheduling 0
		.amdhsa_exception_fp_ieee_invalid_op 0
		.amdhsa_exception_fp_denorm_src 0
		.amdhsa_exception_fp_ieee_div_zero 0
		.amdhsa_exception_fp_ieee_overflow 0
		.amdhsa_exception_fp_ieee_underflow 0
		.amdhsa_exception_fp_ieee_inexact 0
		.amdhsa_exception_int_div_zero 0
	.end_amdhsa_kernel
	.section	.text._ZN9rocsparseL49gtsv_nopivot_strided_batch_pcr_pow2_shared_kernelILj8EfEEviiiPKT0_S3_S3_PS1_,"axG",@progbits,_ZN9rocsparseL49gtsv_nopivot_strided_batch_pcr_pow2_shared_kernelILj8EfEEviiiPKT0_S3_S3_PS1_,comdat
.Lfunc_end2:
	.size	_ZN9rocsparseL49gtsv_nopivot_strided_batch_pcr_pow2_shared_kernelILj8EfEEviiiPKT0_S3_S3_PS1_, .Lfunc_end2-_ZN9rocsparseL49gtsv_nopivot_strided_batch_pcr_pow2_shared_kernelILj8EfEEviiiPKT0_S3_S3_PS1_
                                        ; -- End function
	.set _ZN9rocsparseL49gtsv_nopivot_strided_batch_pcr_pow2_shared_kernelILj8EfEEviiiPKT0_S3_S3_PS1_.num_vgpr, 25
	.set _ZN9rocsparseL49gtsv_nopivot_strided_batch_pcr_pow2_shared_kernelILj8EfEEviiiPKT0_S3_S3_PS1_.num_agpr, 0
	.set _ZN9rocsparseL49gtsv_nopivot_strided_batch_pcr_pow2_shared_kernelILj8EfEEviiiPKT0_S3_S3_PS1_.numbered_sgpr, 12
	.set _ZN9rocsparseL49gtsv_nopivot_strided_batch_pcr_pow2_shared_kernelILj8EfEEviiiPKT0_S3_S3_PS1_.num_named_barrier, 0
	.set _ZN9rocsparseL49gtsv_nopivot_strided_batch_pcr_pow2_shared_kernelILj8EfEEviiiPKT0_S3_S3_PS1_.private_seg_size, 0
	.set _ZN9rocsparseL49gtsv_nopivot_strided_batch_pcr_pow2_shared_kernelILj8EfEEviiiPKT0_S3_S3_PS1_.uses_vcc, 1
	.set _ZN9rocsparseL49gtsv_nopivot_strided_batch_pcr_pow2_shared_kernelILj8EfEEviiiPKT0_S3_S3_PS1_.uses_flat_scratch, 0
	.set _ZN9rocsparseL49gtsv_nopivot_strided_batch_pcr_pow2_shared_kernelILj8EfEEviiiPKT0_S3_S3_PS1_.has_dyn_sized_stack, 0
	.set _ZN9rocsparseL49gtsv_nopivot_strided_batch_pcr_pow2_shared_kernelILj8EfEEviiiPKT0_S3_S3_PS1_.has_recursion, 0
	.set _ZN9rocsparseL49gtsv_nopivot_strided_batch_pcr_pow2_shared_kernelILj8EfEEviiiPKT0_S3_S3_PS1_.has_indirect_call, 0
	.section	.AMDGPU.csdata,"",@progbits
; Kernel info:
; codeLenInByte = 1064
; TotalNumSgprs: 14
; NumVgprs: 25
; ScratchSize: 0
; MemoryBound: 0
; FloatMode: 240
; IeeeMode: 1
; LDSByteSize: 228 bytes/workgroup (compile time only)
; SGPRBlocks: 0
; VGPRBlocks: 1
; NumSGPRsForWavesPerEU: 14
; NumVGPRsForWavesPerEU: 25
; NamedBarCnt: 0
; Occupancy: 16
; WaveLimiterHint : 0
; COMPUTE_PGM_RSRC2:SCRATCH_EN: 0
; COMPUTE_PGM_RSRC2:USER_SGPR: 2
; COMPUTE_PGM_RSRC2:TRAP_HANDLER: 0
; COMPUTE_PGM_RSRC2:TGID_X_EN: 1
; COMPUTE_PGM_RSRC2:TGID_Y_EN: 0
; COMPUTE_PGM_RSRC2:TGID_Z_EN: 0
; COMPUTE_PGM_RSRC2:TIDIG_COMP_CNT: 0
	.section	.text._ZN9rocsparseL49gtsv_nopivot_strided_batch_pcr_pow2_shared_kernelILj16EfEEviiiPKT0_S3_S3_PS1_,"axG",@progbits,_ZN9rocsparseL49gtsv_nopivot_strided_batch_pcr_pow2_shared_kernelILj16EfEEviiiPKT0_S3_S3_PS1_,comdat
	.globl	_ZN9rocsparseL49gtsv_nopivot_strided_batch_pcr_pow2_shared_kernelILj16EfEEviiiPKT0_S3_S3_PS1_ ; -- Begin function _ZN9rocsparseL49gtsv_nopivot_strided_batch_pcr_pow2_shared_kernelILj16EfEEviiiPKT0_S3_S3_PS1_
	.p2align	8
	.type	_ZN9rocsparseL49gtsv_nopivot_strided_batch_pcr_pow2_shared_kernelILj16EfEEviiiPKT0_S3_S3_PS1_,@function
_ZN9rocsparseL49gtsv_nopivot_strided_batch_pcr_pow2_shared_kernelILj16EfEEviiiPKT0_S3_S3_PS1_: ; @_ZN9rocsparseL49gtsv_nopivot_strided_batch_pcr_pow2_shared_kernelILj16EfEEviiiPKT0_S3_S3_PS1_
; %bb.0:
	s_load_b32 s2, s[0:1], 0x8
	s_bfe_u32 s3, ttmp6, 0x4000c
	s_load_b256 s[4:11], s[0:1], 0x10
	s_add_co_i32 s3, s3, 1
	s_wait_xcnt 0x0
	s_and_b32 s0, ttmp6, 15
	s_mul_i32 s1, ttmp9, s3
	s_getreg_b32 s3, hwreg(HW_REG_IB_STS2, 6, 4)
	s_add_co_i32 s0, s0, s1
	s_cmp_eq_u32 s3, 0
	v_sub_nc_u32_e64 v7, v0, 1 clamp
	s_cselect_b32 s0, ttmp9, s0
	v_min_u32_e32 v8, 14, v0
	s_delay_alu instid0(VALU_DEP_2) | instskip(NEXT) | instid1(VALU_DEP_2)
	v_dual_lshlrev_b32 v2, 2, v0 :: v_dual_lshlrev_b32 v14, 2, v7
	v_lshlrev_b32_e32 v16, 2, v8
	s_wait_kmcnt 0x0
	v_mad_u32 v4, s2, s0, v0
	s_clause 0x3
	global_load_b32 v1, v4, s[4:5] scale_offset
	global_load_b32 v3, v4, s[6:7] scale_offset
	;; [unrolled: 1-line block ×4, first 2 shown]
	s_wait_loadcnt 0x2
	ds_store_2addr_b32 v2, v1, v3 offset1:20
	s_wait_loadcnt 0x0
	ds_store_2addr_b32 v2, v5, v6 offset0:40 offset1:80
	s_wait_dscnt 0x0
	; wave barrier
	ds_load_2addr_b32 v[6:7], v2 offset1:20
	ds_load_2addr_b32 v[8:9], v14 offset1:20
	ds_load_2addr_b32 v[10:11], v2 offset0:40 offset1:80
	ds_load_2addr_b32 v[12:13], v16 offset0:1 offset1:21
	s_wait_dscnt 0x2
	v_div_scale_f32 v1, null, v9, v9, v6
	s_wait_dscnt 0x0
	v_div_scale_f32 v3, null, v13, v13, v10
	v_div_scale_f32 v19, vcc_lo, v6, v9, v6
	s_delay_alu instid0(VALU_DEP_3) | instskip(NEXT) | instid1(VALU_DEP_2)
	v_rcp_f32_e32 v5, v1
	v_rcp_f32_e32 v18, v3
	v_div_scale_f32 v20, s0, v10, v13, v10
	s_delay_alu instid0(TRANS32_DEP_2) | instskip(NEXT) | instid1(TRANS32_DEP_1)
	v_fma_f32 v15, -v1, v5, 1.0
	v_fma_f32 v17, -v3, v18, 1.0
	s_delay_alu instid0(VALU_DEP_1) | instskip(SKIP_2) | instid1(VALU_DEP_1)
	v_dual_fmac_f32 v5, v15, v5 :: v_dual_fmac_f32 v18, v17, v18
	ds_load_2addr_b32 v[14:15], v14 offset0:40 offset1:80
	v_dual_mul_f32 v21, v19, v5 :: v_dual_mul_f32 v22, v20, v18
	v_dual_fma_f32 v17, -v1, v21, v19 :: v_dual_fma_f32 v23, -v3, v22, v20
	s_delay_alu instid0(VALU_DEP_1) | instskip(SKIP_3) | instid1(VALU_DEP_1)
	v_dual_fmac_f32 v21, v17, v5 :: v_dual_fmac_f32 v22, v23, v18
	ds_load_2addr_b32 v[16:17], v16 offset0:41 offset1:81
	s_wait_dscnt 0x0
	; wave barrier
	v_fma_f32 v1, -v1, v21, v19
	v_div_fmas_f32 v1, v1, v5, v21
	s_mov_b32 vcc_lo, s0
	v_sub_nc_u32_e64 v5, v0, 2 clamp
	s_delay_alu instid0(VALU_DEP_2) | instskip(SKIP_2) | instid1(VALU_DEP_3)
	v_div_fixup_f32 v1, v1, v9, v6
	v_fma_f32 v3, -v3, v22, v20
	v_min_u32_e32 v6, 13, v0
	v_dual_lshlrev_b32 v5, 2, v5 :: v_dual_fma_f32 v7, -v1, v14, v7
	v_fma_f32 v9, -v1, v15, v11
	s_delay_alu instid0(VALU_DEP_4) | instskip(NEXT) | instid1(VALU_DEP_1)
	v_div_fmas_f32 v3, v3, v18, v22
	v_div_fixup_f32 v3, v3, v13, v10
	v_mul_f32_e64 v1, v1, -v8
	s_delay_alu instid0(VALU_DEP_2)
	v_fma_f32 v7, -v3, v12, v7
	v_dual_mul_f32 v8, v3, -v16 :: v_dual_lshlrev_b32 v16, 2, v6
	v_fma_f32 v3, -v3, v17, v9
	ds_store_2addr_b32 v2, v1, v7 offset1:20
	ds_store_2addr_b32 v2, v8, v3 offset0:40 offset1:80
	s_wait_dscnt 0x0
	; wave barrier
	ds_load_2addr_b32 v[6:7], v2 offset1:20
	ds_load_2addr_b32 v[8:9], v5 offset1:20
	ds_load_2addr_b32 v[10:11], v2 offset0:40 offset1:80
	ds_load_2addr_b32 v[12:13], v16 offset0:2 offset1:22
	s_wait_dscnt 0x2
	v_div_scale_f32 v1, null, v9, v9, v6
	s_wait_dscnt 0x0
	v_div_scale_f32 v3, null, v13, v13, v10
	v_div_scale_f32 v20, vcc_lo, v6, v9, v6
	s_delay_alu instid0(VALU_DEP_3) | instskip(NEXT) | instid1(VALU_DEP_2)
	v_rcp_f32_e32 v18, v1
	v_rcp_f32_e32 v19, v3
	v_div_scale_f32 v21, s0, v10, v13, v10
	s_delay_alu instid0(TRANS32_DEP_2) | instskip(NEXT) | instid1(TRANS32_DEP_1)
	v_fma_f32 v14, -v1, v18, 1.0
	v_fma_f32 v15, -v3, v19, 1.0
	s_delay_alu instid0(VALU_DEP_1) | instskip(SKIP_3) | instid1(VALU_DEP_1)
	v_dual_fmac_f32 v18, v14, v18 :: v_dual_fmac_f32 v19, v15, v19
	ds_load_2addr_b32 v[14:15], v5 offset0:40 offset1:80
	v_sub_nc_u32_e64 v5, v0, 4 clamp
	v_dual_mul_f32 v22, v20, v18 :: v_dual_mul_f32 v23, v21, v19
	v_dual_lshlrev_b32 v5, 2, v5 :: v_dual_fma_f32 v17, -v1, v22, v20
	s_delay_alu instid0(VALU_DEP_1) | instskip(NEXT) | instid1(VALU_DEP_1)
	v_dual_fma_f32 v24, -v3, v23, v21 :: v_dual_fmac_f32 v22, v17, v18
	v_fmac_f32_e32 v23, v24, v19
	ds_load_2addr_b32 v[16:17], v16 offset0:42 offset1:82
	s_wait_dscnt 0x0
	; wave barrier
	v_dual_fma_f32 v1, -v1, v22, v20 :: v_dual_fma_f32 v3, -v3, v23, v21
	s_delay_alu instid0(VALU_DEP_1) | instskip(SKIP_1) | instid1(VALU_DEP_2)
	v_div_fmas_f32 v1, v1, v18, v22
	s_mov_b32 vcc_lo, s0
	v_div_fmas_f32 v3, v3, v19, v23
	s_delay_alu instid0(VALU_DEP_2) | instskip(SKIP_1) | instid1(VALU_DEP_3)
	v_div_fixup_f32 v1, v1, v9, v6
	v_min_u32_e32 v6, 11, v0
	v_div_fixup_f32 v3, v3, v13, v10
	s_delay_alu instid0(VALU_DEP_3) | instskip(SKIP_1) | instid1(VALU_DEP_3)
	v_fma_f32 v7, -v1, v14, v7
	v_dual_fma_f32 v9, -v1, v15, v11 :: v_dual_mul_f32 v1, v1, -v8
	v_dual_mul_f32 v8, v3, -v16 :: v_dual_lshlrev_b32 v16, 2, v6
	s_delay_alu instid0(VALU_DEP_2)
	v_dual_fma_f32 v7, -v3, v12, v7 :: v_dual_fma_f32 v3, -v3, v17, v9
	ds_store_2addr_b32 v2, v1, v7 offset1:20
	ds_store_2addr_b32 v2, v8, v3 offset0:40 offset1:80
	s_wait_dscnt 0x0
	; wave barrier
	ds_load_2addr_b32 v[6:7], v2 offset1:20
	ds_load_2addr_b32 v[8:9], v5 offset1:20
	ds_load_2addr_b32 v[10:11], v2 offset0:40 offset1:80
	ds_load_2addr_b32 v[12:13], v16 offset0:4 offset1:24
	s_wait_dscnt 0x2
	v_div_scale_f32 v1, null, v9, v9, v6
	s_wait_dscnt 0x0
	v_div_scale_f32 v3, null, v13, v13, v10
	v_div_scale_f32 v20, vcc_lo, v6, v9, v6
	s_delay_alu instid0(VALU_DEP_3) | instskip(NEXT) | instid1(VALU_DEP_2)
	v_rcp_f32_e32 v18, v1
	v_rcp_f32_e32 v19, v3
	v_div_scale_f32 v21, s0, v10, v13, v10
	s_delay_alu instid0(TRANS32_DEP_2) | instskip(NEXT) | instid1(TRANS32_DEP_1)
	v_fma_f32 v14, -v1, v18, 1.0
	v_fma_f32 v15, -v3, v19, 1.0
	s_delay_alu instid0(VALU_DEP_1) | instskip(SKIP_2) | instid1(VALU_DEP_1)
	v_dual_fmac_f32 v19, v15, v19 :: v_dual_fmac_f32 v18, v14, v18
	ds_load_2addr_b32 v[14:15], v5 offset0:40 offset1:80
	v_dual_ashrrev_i32 v5, 31, v4 :: v_dual_mul_f32 v23, v21, v19
	v_dual_mul_f32 v22, v20, v18 :: v_dual_fma_f32 v24, -v3, v23, v21
	s_delay_alu instid0(VALU_DEP_1) | instskip(NEXT) | instid1(VALU_DEP_1)
	v_dual_fma_f32 v17, -v1, v22, v20 :: v_dual_fmac_f32 v23, v24, v19
	v_fmac_f32_e32 v22, v17, v18
	ds_load_2addr_b32 v[16:17], v16 offset0:44 offset1:84
	s_wait_dscnt 0x0
	; wave barrier
	v_dual_fma_f32 v3, -v3, v23, v21 :: v_dual_fma_f32 v1, -v1, v22, v20
	s_delay_alu instid0(VALU_DEP_1) | instskip(SKIP_1) | instid1(VALU_DEP_2)
	v_div_fmas_f32 v1, v1, v18, v22
	s_mov_b32 vcc_lo, s0
	v_div_fmas_f32 v3, v3, v19, v23
	v_cmp_gt_u32_e32 vcc_lo, 8, v0
	s_delay_alu instid0(VALU_DEP_3) | instskip(NEXT) | instid1(VALU_DEP_3)
	v_div_fixup_f32 v1, v1, v9, v6
	v_div_fixup_f32 v0, v3, v13, v10
	s_delay_alu instid0(VALU_DEP_2) | instskip(NEXT) | instid1(VALU_DEP_2)
	v_dual_fma_f32 v3, -v1, v14, v7 :: v_dual_mul_f32 v7, v1, -v8
	v_dual_fma_f32 v6, -v1, v15, v11 :: v_dual_mul_f32 v8, v0, -v16
	s_delay_alu instid0(VALU_DEP_1)
	v_dual_fma_f32 v3, -v0, v12, v3 :: v_dual_fma_f32 v6, -v0, v17, v6
	v_lshl_add_u64 v[0:1], v[4:5], 2, s[10:11]
	ds_store_2addr_b32 v2, v7, v3 offset1:20
	ds_store_2addr_b32 v2, v8, v6 offset0:40 offset1:80
	s_wait_dscnt 0x0
	; wave barrier
	s_and_saveexec_b32 s0, vcc_lo
	s_cbranch_execz .LBB3_2
; %bb.1:
	v_add_nc_u32_e32 v3, 0xa0, v2
	v_add_nc_u32_e32 v4, 0x50, v2
	v_or_b32_e32 v7, 0x140, v2
	ds_load_b32 v3, v3
	ds_load_b32 v8, v2 offset:32
	ds_load_2addr_b32 v[4:5], v4 offset1:8
	s_wait_dscnt 0x1
	v_mul_f32_e32 v6, v3, v8
	s_wait_dscnt 0x0
	s_delay_alu instid0(VALU_DEP_1) | instskip(NEXT) | instid1(VALU_DEP_1)
	v_fma_f32 v9, v5, v4, -v6
	v_div_scale_f32 v10, null, v9, v9, 1.0
	v_div_scale_f32 v12, vcc_lo, 1.0, v9, 1.0
	s_delay_alu instid0(VALU_DEP_2) | instskip(SKIP_1) | instid1(TRANS32_DEP_1)
	v_rcp_f32_e32 v11, v10
	v_nop
	v_fma_f32 v6, -v10, v11, 1.0
	s_delay_alu instid0(VALU_DEP_1) | instskip(SKIP_2) | instid1(VALU_DEP_1)
	v_fmac_f32_e32 v11, v6, v11
	ds_load_2addr_b32 v[6:7], v7 offset1:8
	v_mul_f32_e32 v13, v12, v11
	v_fma_f32 v14, -v10, v13, v12
	s_wait_dscnt 0x0
	s_delay_alu instid0(VALU_DEP_1) | instskip(NEXT) | instid1(VALU_DEP_1)
	v_dual_fmac_f32 v13, v14, v11 :: v_dual_mul_f32 v8, v8, v6
	v_dual_fma_f32 v10, -v10, v13, v12 :: v_dual_mul_f32 v3, v3, v7
	s_delay_alu instid0(VALU_DEP_2) | instskip(NEXT) | instid1(VALU_DEP_2)
	v_fma_f32 v4, v4, v7, -v8
	v_div_fmas_f32 v10, v10, v11, v13
	s_delay_alu instid0(VALU_DEP_3) | instskip(NEXT) | instid1(VALU_DEP_2)
	v_fma_f32 v3, v5, v6, -v3
	v_div_fixup_f32 v5, v10, v9, 1.0
	s_delay_alu instid0(VALU_DEP_1)
	v_dual_mul_f32 v3, v5, v3 :: v_dual_mul_f32 v4, v5, v4
	ds_store_2addr_b32 v2, v3, v4 offset0:60 offset1:68
.LBB3_2:
	s_or_b32 exec_lo, exec_lo, s0
	s_wait_dscnt 0x0
	; wave barrier
	ds_load_b32 v2, v2 offset:240
	s_wait_dscnt 0x0
	global_store_b32 v[0:1], v2, off
	s_endpgm
	.section	.rodata,"a",@progbits
	.p2align	6, 0x0
	.amdhsa_kernel _ZN9rocsparseL49gtsv_nopivot_strided_batch_pcr_pow2_shared_kernelILj16EfEEviiiPKT0_S3_S3_PS1_
		.amdhsa_group_segment_fixed_size 388
		.amdhsa_private_segment_fixed_size 0
		.amdhsa_kernarg_size 48
		.amdhsa_user_sgpr_count 2
		.amdhsa_user_sgpr_dispatch_ptr 0
		.amdhsa_user_sgpr_queue_ptr 0
		.amdhsa_user_sgpr_kernarg_segment_ptr 1
		.amdhsa_user_sgpr_dispatch_id 0
		.amdhsa_user_sgpr_kernarg_preload_length 0
		.amdhsa_user_sgpr_kernarg_preload_offset 0
		.amdhsa_user_sgpr_private_segment_size 0
		.amdhsa_wavefront_size32 1
		.amdhsa_uses_dynamic_stack 0
		.amdhsa_enable_private_segment 0
		.amdhsa_system_sgpr_workgroup_id_x 1
		.amdhsa_system_sgpr_workgroup_id_y 0
		.amdhsa_system_sgpr_workgroup_id_z 0
		.amdhsa_system_sgpr_workgroup_info 0
		.amdhsa_system_vgpr_workitem_id 0
		.amdhsa_next_free_vgpr 25
		.amdhsa_next_free_sgpr 12
		.amdhsa_named_barrier_count 0
		.amdhsa_reserve_vcc 1
		.amdhsa_float_round_mode_32 0
		.amdhsa_float_round_mode_16_64 0
		.amdhsa_float_denorm_mode_32 3
		.amdhsa_float_denorm_mode_16_64 3
		.amdhsa_fp16_overflow 0
		.amdhsa_memory_ordered 1
		.amdhsa_forward_progress 1
		.amdhsa_inst_pref_size 11
		.amdhsa_round_robin_scheduling 0
		.amdhsa_exception_fp_ieee_invalid_op 0
		.amdhsa_exception_fp_denorm_src 0
		.amdhsa_exception_fp_ieee_div_zero 0
		.amdhsa_exception_fp_ieee_overflow 0
		.amdhsa_exception_fp_ieee_underflow 0
		.amdhsa_exception_fp_ieee_inexact 0
		.amdhsa_exception_int_div_zero 0
	.end_amdhsa_kernel
	.section	.text._ZN9rocsparseL49gtsv_nopivot_strided_batch_pcr_pow2_shared_kernelILj16EfEEviiiPKT0_S3_S3_PS1_,"axG",@progbits,_ZN9rocsparseL49gtsv_nopivot_strided_batch_pcr_pow2_shared_kernelILj16EfEEviiiPKT0_S3_S3_PS1_,comdat
.Lfunc_end3:
	.size	_ZN9rocsparseL49gtsv_nopivot_strided_batch_pcr_pow2_shared_kernelILj16EfEEviiiPKT0_S3_S3_PS1_, .Lfunc_end3-_ZN9rocsparseL49gtsv_nopivot_strided_batch_pcr_pow2_shared_kernelILj16EfEEviiiPKT0_S3_S3_PS1_
                                        ; -- End function
	.set _ZN9rocsparseL49gtsv_nopivot_strided_batch_pcr_pow2_shared_kernelILj16EfEEviiiPKT0_S3_S3_PS1_.num_vgpr, 25
	.set _ZN9rocsparseL49gtsv_nopivot_strided_batch_pcr_pow2_shared_kernelILj16EfEEviiiPKT0_S3_S3_PS1_.num_agpr, 0
	.set _ZN9rocsparseL49gtsv_nopivot_strided_batch_pcr_pow2_shared_kernelILj16EfEEviiiPKT0_S3_S3_PS1_.numbered_sgpr, 12
	.set _ZN9rocsparseL49gtsv_nopivot_strided_batch_pcr_pow2_shared_kernelILj16EfEEviiiPKT0_S3_S3_PS1_.num_named_barrier, 0
	.set _ZN9rocsparseL49gtsv_nopivot_strided_batch_pcr_pow2_shared_kernelILj16EfEEviiiPKT0_S3_S3_PS1_.private_seg_size, 0
	.set _ZN9rocsparseL49gtsv_nopivot_strided_batch_pcr_pow2_shared_kernelILj16EfEEviiiPKT0_S3_S3_PS1_.uses_vcc, 1
	.set _ZN9rocsparseL49gtsv_nopivot_strided_batch_pcr_pow2_shared_kernelILj16EfEEviiiPKT0_S3_S3_PS1_.uses_flat_scratch, 0
	.set _ZN9rocsparseL49gtsv_nopivot_strided_batch_pcr_pow2_shared_kernelILj16EfEEviiiPKT0_S3_S3_PS1_.has_dyn_sized_stack, 0
	.set _ZN9rocsparseL49gtsv_nopivot_strided_batch_pcr_pow2_shared_kernelILj16EfEEviiiPKT0_S3_S3_PS1_.has_recursion, 0
	.set _ZN9rocsparseL49gtsv_nopivot_strided_batch_pcr_pow2_shared_kernelILj16EfEEviiiPKT0_S3_S3_PS1_.has_indirect_call, 0
	.section	.AMDGPU.csdata,"",@progbits
; Kernel info:
; codeLenInByte = 1396
; TotalNumSgprs: 14
; NumVgprs: 25
; ScratchSize: 0
; MemoryBound: 0
; FloatMode: 240
; IeeeMode: 1
; LDSByteSize: 388 bytes/workgroup (compile time only)
; SGPRBlocks: 0
; VGPRBlocks: 1
; NumSGPRsForWavesPerEU: 14
; NumVGPRsForWavesPerEU: 25
; NamedBarCnt: 0
; Occupancy: 16
; WaveLimiterHint : 0
; COMPUTE_PGM_RSRC2:SCRATCH_EN: 0
; COMPUTE_PGM_RSRC2:USER_SGPR: 2
; COMPUTE_PGM_RSRC2:TRAP_HANDLER: 0
; COMPUTE_PGM_RSRC2:TGID_X_EN: 1
; COMPUTE_PGM_RSRC2:TGID_Y_EN: 0
; COMPUTE_PGM_RSRC2:TGID_Z_EN: 0
; COMPUTE_PGM_RSRC2:TIDIG_COMP_CNT: 0
	.section	.text._ZN9rocsparseL49gtsv_nopivot_strided_batch_pcr_pow2_shared_kernelILj32EfEEviiiPKT0_S3_S3_PS1_,"axG",@progbits,_ZN9rocsparseL49gtsv_nopivot_strided_batch_pcr_pow2_shared_kernelILj32EfEEviiiPKT0_S3_S3_PS1_,comdat
	.globl	_ZN9rocsparseL49gtsv_nopivot_strided_batch_pcr_pow2_shared_kernelILj32EfEEviiiPKT0_S3_S3_PS1_ ; -- Begin function _ZN9rocsparseL49gtsv_nopivot_strided_batch_pcr_pow2_shared_kernelILj32EfEEviiiPKT0_S3_S3_PS1_
	.p2align	8
	.type	_ZN9rocsparseL49gtsv_nopivot_strided_batch_pcr_pow2_shared_kernelILj32EfEEviiiPKT0_S3_S3_PS1_,@function
_ZN9rocsparseL49gtsv_nopivot_strided_batch_pcr_pow2_shared_kernelILj32EfEEviiiPKT0_S3_S3_PS1_: ; @_ZN9rocsparseL49gtsv_nopivot_strided_batch_pcr_pow2_shared_kernelILj32EfEEviiiPKT0_S3_S3_PS1_
; %bb.0:
	s_load_b32 s2, s[0:1], 0x8
	s_bfe_u32 s3, ttmp6, 0x4000c
	s_load_b256 s[4:11], s[0:1], 0x10
	s_add_co_i32 s3, s3, 1
	s_wait_xcnt 0x0
	s_and_b32 s0, ttmp6, 15
	s_mul_i32 s1, ttmp9, s3
	s_getreg_b32 s3, hwreg(HW_REG_IB_STS2, 6, 4)
	s_add_co_i32 s0, s0, s1
	s_cmp_eq_u32 s3, 0
	v_sub_nc_u32_e64 v7, v0, 1 clamp
	s_cselect_b32 s0, ttmp9, s0
	v_min_u32_e32 v8, 30, v0
	s_delay_alu instid0(VALU_DEP_2) | instskip(NEXT) | instid1(VALU_DEP_2)
	v_dual_lshlrev_b32 v2, 2, v0 :: v_dual_lshlrev_b32 v14, 2, v7
	v_lshlrev_b32_e32 v16, 2, v8
	s_wait_kmcnt 0x0
	v_mad_u32 v4, s2, s0, v0
	s_clause 0x3
	global_load_b32 v1, v4, s[4:5] scale_offset
	global_load_b32 v3, v4, s[6:7] scale_offset
	;; [unrolled: 1-line block ×4, first 2 shown]
	s_wait_loadcnt 0x2
	ds_store_2addr_b32 v2, v1, v3 offset1:36
	s_wait_loadcnt 0x0
	ds_store_2addr_b32 v2, v5, v6 offset0:72 offset1:144
	s_wait_dscnt 0x0
	; wave barrier
	ds_load_2addr_b32 v[6:7], v2 offset1:36
	ds_load_2addr_b32 v[8:9], v14 offset1:36
	ds_load_2addr_b32 v[10:11], v2 offset0:72 offset1:144
	ds_load_2addr_b32 v[12:13], v16 offset0:1 offset1:37
	s_wait_dscnt 0x2
	v_div_scale_f32 v1, null, v9, v9, v6
	s_wait_dscnt 0x0
	v_div_scale_f32 v3, null, v13, v13, v10
	v_div_scale_f32 v19, vcc_lo, v6, v9, v6
	s_delay_alu instid0(VALU_DEP_3) | instskip(NEXT) | instid1(VALU_DEP_2)
	v_rcp_f32_e32 v5, v1
	v_rcp_f32_e32 v18, v3
	v_div_scale_f32 v20, s0, v10, v13, v10
	s_delay_alu instid0(TRANS32_DEP_2) | instskip(NEXT) | instid1(TRANS32_DEP_1)
	v_fma_f32 v15, -v1, v5, 1.0
	v_fma_f32 v17, -v3, v18, 1.0
	s_delay_alu instid0(VALU_DEP_1) | instskip(SKIP_2) | instid1(VALU_DEP_1)
	v_dual_fmac_f32 v5, v15, v5 :: v_dual_fmac_f32 v18, v17, v18
	ds_load_2addr_b32 v[14:15], v14 offset0:72 offset1:144
	v_dual_mul_f32 v21, v19, v5 :: v_dual_mul_f32 v22, v20, v18
	v_dual_fma_f32 v17, -v1, v21, v19 :: v_dual_fma_f32 v23, -v3, v22, v20
	s_delay_alu instid0(VALU_DEP_1) | instskip(SKIP_3) | instid1(VALU_DEP_1)
	v_dual_fmac_f32 v21, v17, v5 :: v_dual_fmac_f32 v22, v23, v18
	ds_load_2addr_b32 v[16:17], v16 offset0:73 offset1:145
	s_wait_dscnt 0x0
	; wave barrier
	v_fma_f32 v1, -v1, v21, v19
	v_div_fmas_f32 v1, v1, v5, v21
	s_mov_b32 vcc_lo, s0
	v_sub_nc_u32_e64 v5, v0, 2 clamp
	s_delay_alu instid0(VALU_DEP_2) | instskip(SKIP_2) | instid1(VALU_DEP_3)
	v_div_fixup_f32 v1, v1, v9, v6
	v_fma_f32 v3, -v3, v22, v20
	v_min_u32_e32 v6, 29, v0
	v_dual_lshlrev_b32 v5, 2, v5 :: v_dual_fma_f32 v7, -v1, v14, v7
	v_fma_f32 v9, -v1, v15, v11
	s_delay_alu instid0(VALU_DEP_4) | instskip(NEXT) | instid1(VALU_DEP_1)
	v_div_fmas_f32 v3, v3, v18, v22
	v_div_fixup_f32 v3, v3, v13, v10
	v_mul_f32_e64 v1, v1, -v8
	s_delay_alu instid0(VALU_DEP_2)
	v_fma_f32 v7, -v3, v12, v7
	v_dual_mul_f32 v8, v3, -v16 :: v_dual_lshlrev_b32 v16, 2, v6
	v_fma_f32 v3, -v3, v17, v9
	ds_store_2addr_b32 v2, v1, v7 offset1:36
	ds_store_2addr_b32 v2, v8, v3 offset0:72 offset1:144
	s_wait_dscnt 0x0
	; wave barrier
	ds_load_2addr_b32 v[6:7], v2 offset1:36
	ds_load_2addr_b32 v[8:9], v5 offset1:36
	ds_load_2addr_b32 v[10:11], v2 offset0:72 offset1:144
	ds_load_2addr_b32 v[12:13], v16 offset0:2 offset1:38
	s_wait_dscnt 0x2
	v_div_scale_f32 v1, null, v9, v9, v6
	s_wait_dscnt 0x0
	v_div_scale_f32 v3, null, v13, v13, v10
	v_div_scale_f32 v20, vcc_lo, v6, v9, v6
	s_delay_alu instid0(VALU_DEP_3) | instskip(NEXT) | instid1(VALU_DEP_2)
	v_rcp_f32_e32 v18, v1
	v_rcp_f32_e32 v19, v3
	v_div_scale_f32 v21, s0, v10, v13, v10
	s_delay_alu instid0(TRANS32_DEP_2) | instskip(NEXT) | instid1(TRANS32_DEP_1)
	v_fma_f32 v14, -v1, v18, 1.0
	v_fma_f32 v15, -v3, v19, 1.0
	s_delay_alu instid0(VALU_DEP_1) | instskip(SKIP_3) | instid1(VALU_DEP_1)
	v_dual_fmac_f32 v18, v14, v18 :: v_dual_fmac_f32 v19, v15, v19
	ds_load_2addr_b32 v[14:15], v5 offset0:72 offset1:144
	v_sub_nc_u32_e64 v5, v0, 4 clamp
	v_dual_mul_f32 v22, v20, v18 :: v_dual_mul_f32 v23, v21, v19
	v_dual_lshlrev_b32 v5, 2, v5 :: v_dual_fma_f32 v17, -v1, v22, v20
	s_delay_alu instid0(VALU_DEP_1) | instskip(NEXT) | instid1(VALU_DEP_1)
	v_dual_fma_f32 v24, -v3, v23, v21 :: v_dual_fmac_f32 v22, v17, v18
	v_fmac_f32_e32 v23, v24, v19
	ds_load_2addr_b32 v[16:17], v16 offset0:74 offset1:146
	s_wait_dscnt 0x0
	; wave barrier
	v_dual_fma_f32 v1, -v1, v22, v20 :: v_dual_fma_f32 v3, -v3, v23, v21
	s_delay_alu instid0(VALU_DEP_1) | instskip(SKIP_1) | instid1(VALU_DEP_2)
	v_div_fmas_f32 v1, v1, v18, v22
	s_mov_b32 vcc_lo, s0
	v_div_fmas_f32 v3, v3, v19, v23
	s_delay_alu instid0(VALU_DEP_2) | instskip(SKIP_1) | instid1(VALU_DEP_3)
	v_div_fixup_f32 v1, v1, v9, v6
	v_min_u32_e32 v6, 27, v0
	v_div_fixup_f32 v3, v3, v13, v10
	s_delay_alu instid0(VALU_DEP_3) | instskip(SKIP_1) | instid1(VALU_DEP_3)
	v_fma_f32 v7, -v1, v14, v7
	v_dual_fma_f32 v9, -v1, v15, v11 :: v_dual_mul_f32 v1, v1, -v8
	v_dual_mul_f32 v8, v3, -v16 :: v_dual_lshlrev_b32 v16, 2, v6
	s_delay_alu instid0(VALU_DEP_2)
	v_dual_fma_f32 v7, -v3, v12, v7 :: v_dual_fma_f32 v3, -v3, v17, v9
	ds_store_2addr_b32 v2, v1, v7 offset1:36
	ds_store_2addr_b32 v2, v8, v3 offset0:72 offset1:144
	s_wait_dscnt 0x0
	; wave barrier
	ds_load_2addr_b32 v[6:7], v2 offset1:36
	ds_load_2addr_b32 v[8:9], v5 offset1:36
	ds_load_2addr_b32 v[10:11], v2 offset0:72 offset1:144
	ds_load_2addr_b32 v[12:13], v16 offset0:4 offset1:40
	s_wait_dscnt 0x2
	v_div_scale_f32 v1, null, v9, v9, v6
	s_wait_dscnt 0x0
	v_div_scale_f32 v3, null, v13, v13, v10
	v_div_scale_f32 v20, vcc_lo, v6, v9, v6
	s_delay_alu instid0(VALU_DEP_3) | instskip(NEXT) | instid1(VALU_DEP_2)
	v_rcp_f32_e32 v18, v1
	v_rcp_f32_e32 v19, v3
	v_div_scale_f32 v21, s0, v10, v13, v10
	s_delay_alu instid0(TRANS32_DEP_2) | instskip(NEXT) | instid1(TRANS32_DEP_1)
	v_fma_f32 v14, -v1, v18, 1.0
	v_fma_f32 v15, -v3, v19, 1.0
	s_delay_alu instid0(VALU_DEP_1) | instskip(SKIP_3) | instid1(VALU_DEP_1)
	v_dual_fmac_f32 v19, v15, v19 :: v_dual_fmac_f32 v18, v14, v18
	ds_load_2addr_b32 v[14:15], v5 offset0:72 offset1:144
	v_sub_nc_u32_e64 v5, v0, 8 clamp
	v_dual_mul_f32 v23, v21, v19 :: v_dual_mul_f32 v22, v20, v18
	v_dual_lshlrev_b32 v5, 2, v5 :: v_dual_fma_f32 v24, -v3, v23, v21
	s_delay_alu instid0(VALU_DEP_1) | instskip(NEXT) | instid1(VALU_DEP_1)
	v_dual_fma_f32 v17, -v1, v22, v20 :: v_dual_fmac_f32 v23, v24, v19
	v_fmac_f32_e32 v22, v17, v18
	ds_load_2addr_b32 v[16:17], v16 offset0:76 offset1:148
	s_wait_dscnt 0x0
	; wave barrier
	v_dual_fma_f32 v3, -v3, v23, v21 :: v_dual_fma_f32 v1, -v1, v22, v20
	s_delay_alu instid0(VALU_DEP_1) | instskip(SKIP_1) | instid1(VALU_DEP_2)
	v_div_fmas_f32 v1, v1, v18, v22
	s_mov_b32 vcc_lo, s0
	v_div_fmas_f32 v3, v3, v19, v23
	s_delay_alu instid0(VALU_DEP_2) | instskip(SKIP_1) | instid1(VALU_DEP_3)
	v_div_fixup_f32 v1, v1, v9, v6
	v_min_u32_e32 v6, 23, v0
	v_div_fixup_f32 v3, v3, v13, v10
	s_delay_alu instid0(VALU_DEP_3) | instskip(SKIP_1) | instid1(VALU_DEP_3)
	v_fma_f32 v7, -v1, v14, v7
	v_dual_fma_f32 v9, -v1, v15, v11 :: v_dual_mul_f32 v1, v1, -v8
	v_dual_mul_f32 v8, v3, -v16 :: v_dual_lshlrev_b32 v16, 2, v6
	s_delay_alu instid0(VALU_DEP_2)
	v_dual_fma_f32 v7, -v3, v12, v7 :: v_dual_fma_f32 v3, -v3, v17, v9
	ds_store_2addr_b32 v2, v1, v7 offset1:36
	ds_store_2addr_b32 v2, v8, v3 offset0:72 offset1:144
	s_wait_dscnt 0x0
	; wave barrier
	ds_load_2addr_b32 v[6:7], v2 offset1:36
	ds_load_2addr_b32 v[8:9], v5 offset1:36
	ds_load_2addr_b32 v[10:11], v2 offset0:72 offset1:144
	ds_load_2addr_b32 v[12:13], v16 offset0:8 offset1:44
	s_wait_dscnt 0x2
	v_div_scale_f32 v1, null, v9, v9, v6
	s_wait_dscnt 0x0
	v_div_scale_f32 v3, null, v13, v13, v10
	v_div_scale_f32 v20, vcc_lo, v6, v9, v6
	s_delay_alu instid0(VALU_DEP_3) | instskip(NEXT) | instid1(VALU_DEP_2)
	v_rcp_f32_e32 v18, v1
	v_rcp_f32_e32 v19, v3
	v_div_scale_f32 v21, s0, v10, v13, v10
	s_delay_alu instid0(TRANS32_DEP_2) | instskip(NEXT) | instid1(TRANS32_DEP_1)
	v_fma_f32 v14, -v1, v18, 1.0
	v_fma_f32 v15, -v3, v19, 1.0
	s_delay_alu instid0(VALU_DEP_1) | instskip(SKIP_2) | instid1(VALU_DEP_1)
	v_dual_fmac_f32 v19, v15, v19 :: v_dual_fmac_f32 v18, v14, v18
	ds_load_2addr_b32 v[14:15], v5 offset0:72 offset1:144
	v_dual_ashrrev_i32 v5, 31, v4 :: v_dual_mul_f32 v23, v21, v19
	v_dual_mul_f32 v22, v20, v18 :: v_dual_fma_f32 v24, -v3, v23, v21
	s_delay_alu instid0(VALU_DEP_1) | instskip(NEXT) | instid1(VALU_DEP_1)
	v_dual_fma_f32 v17, -v1, v22, v20 :: v_dual_fmac_f32 v23, v24, v19
	v_fmac_f32_e32 v22, v17, v18
	ds_load_2addr_b32 v[16:17], v16 offset0:80 offset1:152
	s_wait_dscnt 0x0
	; wave barrier
	v_dual_fma_f32 v3, -v3, v23, v21 :: v_dual_fma_f32 v1, -v1, v22, v20
	s_delay_alu instid0(VALU_DEP_1) | instskip(SKIP_1) | instid1(VALU_DEP_2)
	v_div_fmas_f32 v1, v1, v18, v22
	s_mov_b32 vcc_lo, s0
	v_div_fmas_f32 v3, v3, v19, v23
	v_cmp_gt_u32_e32 vcc_lo, 16, v0
	s_delay_alu instid0(VALU_DEP_3) | instskip(NEXT) | instid1(VALU_DEP_3)
	v_div_fixup_f32 v1, v1, v9, v6
	v_div_fixup_f32 v0, v3, v13, v10
	s_delay_alu instid0(VALU_DEP_2) | instskip(NEXT) | instid1(VALU_DEP_2)
	v_dual_fma_f32 v3, -v1, v14, v7 :: v_dual_mul_f32 v7, v1, -v8
	v_dual_fma_f32 v6, -v1, v15, v11 :: v_dual_mul_f32 v8, v0, -v16
	s_delay_alu instid0(VALU_DEP_1)
	v_dual_fma_f32 v3, -v0, v12, v3 :: v_dual_fma_f32 v6, -v0, v17, v6
	v_lshl_add_u64 v[0:1], v[4:5], 2, s[10:11]
	ds_store_2addr_b32 v2, v7, v3 offset1:36
	ds_store_2addr_b32 v2, v8, v6 offset0:72 offset1:144
	s_wait_dscnt 0x0
	; wave barrier
	s_and_saveexec_b32 s0, vcc_lo
	s_cbranch_execz .LBB4_2
; %bb.1:
	v_add_nc_u32_e32 v3, 0x120, v2
	v_add_nc_u32_e32 v4, 0x90, v2
	ds_load_b32 v3, v3
	ds_load_b32 v8, v2 offset:64
	ds_load_2addr_b32 v[4:5], v4 offset1:16
	s_wait_dscnt 0x1
	v_dual_mul_f32 v6, v3, v8 :: v_dual_add_nc_u32 v7, 0x240, v2
	s_wait_dscnt 0x0
	s_delay_alu instid0(VALU_DEP_1) | instskip(NEXT) | instid1(VALU_DEP_1)
	v_fma_f32 v9, v5, v4, -v6
	v_div_scale_f32 v10, null, v9, v9, 1.0
	v_div_scale_f32 v12, vcc_lo, 1.0, v9, 1.0
	s_delay_alu instid0(VALU_DEP_2) | instskip(SKIP_1) | instid1(TRANS32_DEP_1)
	v_rcp_f32_e32 v11, v10
	v_nop
	v_fma_f32 v6, -v10, v11, 1.0
	s_delay_alu instid0(VALU_DEP_1) | instskip(SKIP_2) | instid1(VALU_DEP_1)
	v_fmac_f32_e32 v11, v6, v11
	ds_load_2addr_b32 v[6:7], v7 offset1:16
	v_mul_f32_e32 v13, v12, v11
	v_fma_f32 v14, -v10, v13, v12
	s_wait_dscnt 0x0
	s_delay_alu instid0(VALU_DEP_1) | instskip(NEXT) | instid1(VALU_DEP_1)
	v_dual_fmac_f32 v13, v14, v11 :: v_dual_mul_f32 v8, v8, v6
	v_dual_fma_f32 v10, -v10, v13, v12 :: v_dual_mul_f32 v3, v3, v7
	s_delay_alu instid0(VALU_DEP_2) | instskip(NEXT) | instid1(VALU_DEP_2)
	v_fma_f32 v4, v4, v7, -v8
	v_div_fmas_f32 v10, v10, v11, v13
	s_delay_alu instid0(VALU_DEP_3) | instskip(NEXT) | instid1(VALU_DEP_2)
	v_fma_f32 v3, v5, v6, -v3
	v_div_fixup_f32 v5, v10, v9, 1.0
	s_delay_alu instid0(VALU_DEP_1)
	v_dual_mul_f32 v3, v5, v3 :: v_dual_mul_f32 v4, v5, v4
	ds_store_2addr_b32 v2, v3, v4 offset0:108 offset1:124
.LBB4_2:
	s_or_b32 exec_lo, exec_lo, s0
	s_wait_dscnt 0x0
	; wave barrier
	ds_load_b32 v2, v2 offset:432
	s_wait_dscnt 0x0
	global_store_b32 v[0:1], v2, off
	s_endpgm
	.section	.rodata,"a",@progbits
	.p2align	6, 0x0
	.amdhsa_kernel _ZN9rocsparseL49gtsv_nopivot_strided_batch_pcr_pow2_shared_kernelILj32EfEEviiiPKT0_S3_S3_PS1_
		.amdhsa_group_segment_fixed_size 708
		.amdhsa_private_segment_fixed_size 0
		.amdhsa_kernarg_size 48
		.amdhsa_user_sgpr_count 2
		.amdhsa_user_sgpr_dispatch_ptr 0
		.amdhsa_user_sgpr_queue_ptr 0
		.amdhsa_user_sgpr_kernarg_segment_ptr 1
		.amdhsa_user_sgpr_dispatch_id 0
		.amdhsa_user_sgpr_kernarg_preload_length 0
		.amdhsa_user_sgpr_kernarg_preload_offset 0
		.amdhsa_user_sgpr_private_segment_size 0
		.amdhsa_wavefront_size32 1
		.amdhsa_uses_dynamic_stack 0
		.amdhsa_enable_private_segment 0
		.amdhsa_system_sgpr_workgroup_id_x 1
		.amdhsa_system_sgpr_workgroup_id_y 0
		.amdhsa_system_sgpr_workgroup_id_z 0
		.amdhsa_system_sgpr_workgroup_info 0
		.amdhsa_system_vgpr_workitem_id 0
		.amdhsa_next_free_vgpr 25
		.amdhsa_next_free_sgpr 12
		.amdhsa_named_barrier_count 0
		.amdhsa_reserve_vcc 1
		.amdhsa_float_round_mode_32 0
		.amdhsa_float_round_mode_16_64 0
		.amdhsa_float_denorm_mode_32 3
		.amdhsa_float_denorm_mode_16_64 3
		.amdhsa_fp16_overflow 0
		.amdhsa_memory_ordered 1
		.amdhsa_forward_progress 1
		.amdhsa_inst_pref_size 14
		.amdhsa_round_robin_scheduling 0
		.amdhsa_exception_fp_ieee_invalid_op 0
		.amdhsa_exception_fp_denorm_src 0
		.amdhsa_exception_fp_ieee_div_zero 0
		.amdhsa_exception_fp_ieee_overflow 0
		.amdhsa_exception_fp_ieee_underflow 0
		.amdhsa_exception_fp_ieee_inexact 0
		.amdhsa_exception_int_div_zero 0
	.end_amdhsa_kernel
	.section	.text._ZN9rocsparseL49gtsv_nopivot_strided_batch_pcr_pow2_shared_kernelILj32EfEEviiiPKT0_S3_S3_PS1_,"axG",@progbits,_ZN9rocsparseL49gtsv_nopivot_strided_batch_pcr_pow2_shared_kernelILj32EfEEviiiPKT0_S3_S3_PS1_,comdat
.Lfunc_end4:
	.size	_ZN9rocsparseL49gtsv_nopivot_strided_batch_pcr_pow2_shared_kernelILj32EfEEviiiPKT0_S3_S3_PS1_, .Lfunc_end4-_ZN9rocsparseL49gtsv_nopivot_strided_batch_pcr_pow2_shared_kernelILj32EfEEviiiPKT0_S3_S3_PS1_
                                        ; -- End function
	.set _ZN9rocsparseL49gtsv_nopivot_strided_batch_pcr_pow2_shared_kernelILj32EfEEviiiPKT0_S3_S3_PS1_.num_vgpr, 25
	.set _ZN9rocsparseL49gtsv_nopivot_strided_batch_pcr_pow2_shared_kernelILj32EfEEviiiPKT0_S3_S3_PS1_.num_agpr, 0
	.set _ZN9rocsparseL49gtsv_nopivot_strided_batch_pcr_pow2_shared_kernelILj32EfEEviiiPKT0_S3_S3_PS1_.numbered_sgpr, 12
	.set _ZN9rocsparseL49gtsv_nopivot_strided_batch_pcr_pow2_shared_kernelILj32EfEEviiiPKT0_S3_S3_PS1_.num_named_barrier, 0
	.set _ZN9rocsparseL49gtsv_nopivot_strided_batch_pcr_pow2_shared_kernelILj32EfEEviiiPKT0_S3_S3_PS1_.private_seg_size, 0
	.set _ZN9rocsparseL49gtsv_nopivot_strided_batch_pcr_pow2_shared_kernelILj32EfEEviiiPKT0_S3_S3_PS1_.uses_vcc, 1
	.set _ZN9rocsparseL49gtsv_nopivot_strided_batch_pcr_pow2_shared_kernelILj32EfEEviiiPKT0_S3_S3_PS1_.uses_flat_scratch, 0
	.set _ZN9rocsparseL49gtsv_nopivot_strided_batch_pcr_pow2_shared_kernelILj32EfEEviiiPKT0_S3_S3_PS1_.has_dyn_sized_stack, 0
	.set _ZN9rocsparseL49gtsv_nopivot_strided_batch_pcr_pow2_shared_kernelILj32EfEEviiiPKT0_S3_S3_PS1_.has_recursion, 0
	.set _ZN9rocsparseL49gtsv_nopivot_strided_batch_pcr_pow2_shared_kernelILj32EfEEviiiPKT0_S3_S3_PS1_.has_indirect_call, 0
	.section	.AMDGPU.csdata,"",@progbits
; Kernel info:
; codeLenInByte = 1712
; TotalNumSgprs: 14
; NumVgprs: 25
; ScratchSize: 0
; MemoryBound: 0
; FloatMode: 240
; IeeeMode: 1
; LDSByteSize: 708 bytes/workgroup (compile time only)
; SGPRBlocks: 0
; VGPRBlocks: 1
; NumSGPRsForWavesPerEU: 14
; NumVGPRsForWavesPerEU: 25
; NamedBarCnt: 0
; Occupancy: 16
; WaveLimiterHint : 0
; COMPUTE_PGM_RSRC2:SCRATCH_EN: 0
; COMPUTE_PGM_RSRC2:USER_SGPR: 2
; COMPUTE_PGM_RSRC2:TRAP_HANDLER: 0
; COMPUTE_PGM_RSRC2:TGID_X_EN: 1
; COMPUTE_PGM_RSRC2:TGID_Y_EN: 0
; COMPUTE_PGM_RSRC2:TGID_Z_EN: 0
; COMPUTE_PGM_RSRC2:TIDIG_COMP_CNT: 0
	.section	.text._ZN9rocsparseL49gtsv_nopivot_strided_batch_pcr_pow2_shared_kernelILj64EfEEviiiPKT0_S3_S3_PS1_,"axG",@progbits,_ZN9rocsparseL49gtsv_nopivot_strided_batch_pcr_pow2_shared_kernelILj64EfEEviiiPKT0_S3_S3_PS1_,comdat
	.globl	_ZN9rocsparseL49gtsv_nopivot_strided_batch_pcr_pow2_shared_kernelILj64EfEEviiiPKT0_S3_S3_PS1_ ; -- Begin function _ZN9rocsparseL49gtsv_nopivot_strided_batch_pcr_pow2_shared_kernelILj64EfEEviiiPKT0_S3_S3_PS1_
	.p2align	8
	.type	_ZN9rocsparseL49gtsv_nopivot_strided_batch_pcr_pow2_shared_kernelILj64EfEEviiiPKT0_S3_S3_PS1_,@function
_ZN9rocsparseL49gtsv_nopivot_strided_batch_pcr_pow2_shared_kernelILj64EfEEviiiPKT0_S3_S3_PS1_: ; @_ZN9rocsparseL49gtsv_nopivot_strided_batch_pcr_pow2_shared_kernelILj64EfEEviiiPKT0_S3_S3_PS1_
; %bb.0:
	s_load_b32 s2, s[0:1], 0x8
	s_bfe_u32 s3, ttmp6, 0x4000c
	s_load_b256 s[4:11], s[0:1], 0x10
	s_add_co_i32 s3, s3, 1
	s_wait_xcnt 0x0
	s_and_b32 s0, ttmp6, 15
	s_mul_i32 s1, ttmp9, s3
	s_getreg_b32 s3, hwreg(HW_REG_IB_STS2, 6, 4)
	s_add_co_i32 s0, s0, s1
	s_cmp_eq_u32 s3, 0
	v_sub_nc_u32_e64 v7, v0, 1 clamp
	s_cselect_b32 s0, ttmp9, s0
	v_lshlrev_b32_e32 v2, 2, v0
	v_min_u32_e32 v8, 62, v0
	s_delay_alu instid0(VALU_DEP_3) | instskip(NEXT) | instid1(VALU_DEP_3)
	v_lshlrev_b32_e32 v14, 2, v7
	v_add_nc_u32_e32 v18, 0x200, v2
	s_delay_alu instid0(VALU_DEP_3)
	v_lshlrev_b32_e32 v15, 2, v8
	s_wait_kmcnt 0x0
	v_mad_u32 v4, s2, s0, v0
	s_clause 0x3
	global_load_b32 v1, v4, s[4:5] scale_offset
	global_load_b32 v3, v4, s[6:7] scale_offset
	;; [unrolled: 1-line block ×4, first 2 shown]
	s_wait_loadcnt 0x2
	ds_store_2addr_b32 v2, v1, v3 offset1:68
	s_wait_loadcnt 0x0
	ds_store_2addr_b32 v18, v5, v6 offset0:8 offset1:144
	s_wait_dscnt 0x0
	s_barrier_signal -1
	s_barrier_wait -1
	ds_load_2addr_b32 v[6:7], v2 offset1:68
	ds_load_2addr_b32 v[8:9], v14 offset1:68
	ds_load_2addr_b32 v[10:11], v18 offset0:8 offset1:144
	ds_load_2addr_b32 v[12:13], v15 offset0:1 offset1:69
	s_wait_dscnt 0x2
	v_div_scale_f32 v1, null, v9, v9, v6
	s_wait_dscnt 0x0
	v_div_scale_f32 v3, null, v13, v13, v10
	v_div_scale_f32 v20, vcc_lo, v6, v9, v6
	s_delay_alu instid0(VALU_DEP_3) | instskip(NEXT) | instid1(VALU_DEP_2)
	v_rcp_f32_e32 v5, v1
	v_rcp_f32_e32 v19, v3
	v_div_scale_f32 v21, s0, v10, v13, v10
	s_delay_alu instid0(TRANS32_DEP_2) | instskip(NEXT) | instid1(TRANS32_DEP_1)
	v_fma_f32 v16, -v1, v5, 1.0
	v_fma_f32 v17, -v3, v19, 1.0
	s_delay_alu instid0(VALU_DEP_1) | instskip(SKIP_1) | instid1(VALU_DEP_2)
	v_dual_fmac_f32 v5, v16, v5 :: v_dual_fmac_f32 v19, v17, v19
	v_add_nc_u32_e32 v24, 0x200, v15
	v_dual_mul_f32 v22, v20, v5 :: v_dual_mul_f32 v23, v21, v19
	s_delay_alu instid0(VALU_DEP_1) | instskip(NEXT) | instid1(VALU_DEP_1)
	v_dual_fma_f32 v16, -v1, v22, v20 :: v_dual_fma_f32 v17, -v3, v23, v21
	v_dual_fmac_f32 v23, v17, v19 :: v_dual_add_nc_u32 v14, 0x200, v14
	ds_load_2addr_b32 v[14:15], v14 offset0:8 offset1:144
	v_fmac_f32_e32 v22, v16, v5
	ds_load_2addr_b32 v[16:17], v24 offset0:9 offset1:145
	s_wait_dscnt 0x0
	v_fma_f32 v3, -v3, v23, v21
	s_barrier_signal -1
	v_fma_f32 v1, -v1, v22, v20
	v_min_u32_e32 v20, 61, v0
	s_barrier_wait -1
	s_delay_alu instid0(VALU_DEP_2) | instskip(SKIP_3) | instid1(VALU_DEP_3)
	v_div_fmas_f32 v1, v1, v5, v22
	s_mov_b32 vcc_lo, s0
	v_sub_nc_u32_e64 v5, v0, 2 clamp
	v_div_fmas_f32 v3, v3, v19, v23
	v_div_fixup_f32 v1, v1, v9, v6
	s_delay_alu instid0(VALU_DEP_3) | instskip(NEXT) | instid1(VALU_DEP_3)
	v_dual_lshlrev_b32 v19, 2, v20 :: v_dual_lshlrev_b32 v5, 2, v5
	v_div_fixup_f32 v3, v3, v13, v10
	s_delay_alu instid0(VALU_DEP_3) | instskip(SKIP_1) | instid1(VALU_DEP_3)
	v_fma_f32 v6, -v1, v14, v7
	v_dual_fma_f32 v7, -v1, v15, v11 :: v_dual_mul_f32 v1, v1, -v8
	v_mul_f32_e64 v8, v3, -v16
	s_delay_alu instid0(VALU_DEP_2)
	v_dual_fma_f32 v6, -v3, v12, v6 :: v_dual_fma_f32 v3, -v3, v17, v7
	ds_store_2addr_b32 v2, v1, v6 offset1:68
	ds_store_2addr_b32 v18, v8, v3 offset0:8 offset1:144
	s_wait_dscnt 0x0
	s_barrier_signal -1
	s_barrier_wait -1
	ds_load_2addr_b32 v[6:7], v2 offset1:68
	ds_load_2addr_b32 v[8:9], v5 offset1:68
	ds_load_2addr_b32 v[10:11], v18 offset0:8 offset1:144
	ds_load_2addr_b32 v[12:13], v19 offset0:2 offset1:70
	v_add_nc_u32_e32 v5, 0x200, v5
	s_wait_dscnt 0x2
	v_div_scale_f32 v1, null, v9, v9, v6
	s_wait_dscnt 0x0
	v_div_scale_f32 v3, null, v13, v13, v10
	v_div_scale_f32 v22, vcc_lo, v6, v9, v6
	s_delay_alu instid0(VALU_DEP_3) | instskip(NEXT) | instid1(VALU_DEP_2)
	v_rcp_f32_e32 v20, v1
	v_rcp_f32_e32 v21, v3
	v_div_scale_f32 v23, s0, v10, v13, v10
	s_delay_alu instid0(TRANS32_DEP_2) | instskip(NEXT) | instid1(TRANS32_DEP_1)
	v_fma_f32 v14, -v1, v20, 1.0
	v_fma_f32 v15, -v3, v21, 1.0
	s_delay_alu instid0(VALU_DEP_1) | instskip(SKIP_3) | instid1(VALU_DEP_1)
	v_dual_fmac_f32 v21, v15, v21 :: v_dual_fmac_f32 v20, v14, v20
	ds_load_2addr_b32 v[14:15], v5 offset0:8 offset1:144
	v_min_u32_e32 v5, 59, v0
	v_dual_mul_f32 v25, v23, v21 :: v_dual_mul_f32 v24, v22, v20
	v_dual_fma_f32 v17, -v3, v25, v23 :: v_dual_fma_f32 v16, -v1, v24, v22
	v_add_nc_u32_e32 v19, 0x200, v19
	s_delay_alu instid0(VALU_DEP_2)
	v_dual_fmac_f32 v25, v17, v21 :: v_dual_fmac_f32 v24, v16, v20
	ds_load_2addr_b32 v[16:17], v19 offset0:10 offset1:146
	v_sub_nc_u32_e64 v19, v0, 4 clamp
	s_wait_dscnt 0x0
	s_barrier_signal -1
	v_fma_f32 v1, -v1, v24, v22
	s_barrier_wait -1
	v_lshlrev_b32_e32 v19, 2, v19
	s_delay_alu instid0(VALU_DEP_2) | instskip(SKIP_1) | instid1(VALU_DEP_1)
	v_div_fmas_f32 v1, v1, v20, v24
	s_mov_b32 vcc_lo, s0
	v_div_fixup_f32 v1, v1, v9, v6
	v_fma_f32 v3, -v3, v25, v23
	s_delay_alu instid0(VALU_DEP_2) | instskip(SKIP_1) | instid1(VALU_DEP_3)
	v_dual_lshlrev_b32 v5, 2, v5 :: v_dual_fma_f32 v6, -v1, v14, v7
	v_dual_fma_f32 v7, -v1, v15, v11 :: v_dual_mul_f32 v1, v1, -v8
	v_div_fmas_f32 v3, v3, v21, v25
	s_delay_alu instid0(VALU_DEP_1) | instskip(NEXT) | instid1(VALU_DEP_1)
	v_div_fixup_f32 v3, v3, v13, v10
	v_fma_f32 v6, -v3, v12, v6
	s_delay_alu instid0(VALU_DEP_4)
	v_dual_mul_f32 v8, v3, -v16 :: v_dual_fma_f32 v3, -v3, v17, v7
	ds_store_2addr_b32 v2, v1, v6 offset1:68
	ds_store_2addr_b32 v18, v8, v3 offset0:8 offset1:144
	s_wait_dscnt 0x0
	s_barrier_signal -1
	s_barrier_wait -1
	ds_load_2addr_b32 v[6:7], v2 offset1:68
	ds_load_2addr_b32 v[8:9], v19 offset1:68
	ds_load_2addr_b32 v[10:11], v18 offset0:8 offset1:144
	ds_load_2addr_b32 v[12:13], v5 offset0:4 offset1:72
	s_wait_dscnt 0x2
	v_div_scale_f32 v1, null, v9, v9, v6
	s_wait_dscnt 0x0
	v_div_scale_f32 v3, null, v13, v13, v10
	v_div_scale_f32 v22, vcc_lo, v6, v9, v6
	s_delay_alu instid0(VALU_DEP_3) | instskip(NEXT) | instid1(VALU_DEP_2)
	v_rcp_f32_e32 v20, v1
	v_rcp_f32_e32 v21, v3
	v_div_scale_f32 v23, s0, v10, v13, v10
	s_delay_alu instid0(TRANS32_DEP_2) | instskip(NEXT) | instid1(TRANS32_DEP_1)
	v_fma_f32 v14, -v1, v20, 1.0
	v_fma_f32 v15, -v3, v21, 1.0
	s_delay_alu instid0(VALU_DEP_1) | instskip(NEXT) | instid1(VALU_DEP_1)
	v_dual_fmac_f32 v20, v14, v20 :: v_dual_fmac_f32 v21, v15, v21
	v_dual_mul_f32 v24, v22, v20 :: v_dual_mul_f32 v25, v23, v21
	s_delay_alu instid0(VALU_DEP_1) | instskip(SKIP_3) | instid1(VALU_DEP_4)
	v_dual_fma_f32 v16, -v1, v24, v22 :: v_dual_fma_f32 v17, -v3, v25, v23
	v_add_nc_u32_e32 v14, 0x200, v19
	v_add_nc_u32_e32 v5, 0x200, v5
	v_sub_nc_u32_e64 v19, v0, 8 clamp
	v_dual_fmac_f32 v24, v16, v20 :: v_dual_fmac_f32 v25, v17, v21
	ds_load_2addr_b32 v[14:15], v14 offset0:8 offset1:144
	ds_load_2addr_b32 v[16:17], v5 offset0:12 offset1:148
	v_min_u32_e32 v5, 55, v0
	v_dual_fma_f32 v1, -v1, v24, v22 :: v_dual_fma_f32 v3, -v3, v25, v23
	v_lshlrev_b32_e32 v19, 2, v19
	s_wait_dscnt 0x0
	s_delay_alu instid0(VALU_DEP_3) | instskip(NEXT) | instid1(VALU_DEP_3)
	v_lshlrev_b32_e32 v5, 2, v5
	v_div_fmas_f32 v1, v1, v20, v24
	s_mov_b32 vcc_lo, s0
	s_barrier_signal -1
	v_div_fmas_f32 v3, v3, v21, v25
	s_barrier_wait -1
	v_div_fixup_f32 v1, v1, v9, v6
	s_delay_alu instid0(VALU_DEP_2) | instskip(NEXT) | instid1(VALU_DEP_2)
	v_div_fixup_f32 v3, v3, v13, v10
	v_fma_f32 v6, -v1, v14, v7
	v_dual_fma_f32 v7, -v1, v15, v11 :: v_dual_mul_f32 v1, v1, -v8
	s_delay_alu instid0(VALU_DEP_3) | instskip(NEXT) | instid1(VALU_DEP_2)
	v_mul_f32_e64 v8, v3, -v16
	v_dual_fma_f32 v6, -v3, v12, v6 :: v_dual_fma_f32 v3, -v3, v17, v7
	ds_store_2addr_b32 v2, v1, v6 offset1:68
	ds_store_2addr_b32 v18, v8, v3 offset0:8 offset1:144
	s_wait_dscnt 0x0
	s_barrier_signal -1
	s_barrier_wait -1
	ds_load_2addr_b32 v[6:7], v2 offset1:68
	ds_load_2addr_b32 v[8:9], v19 offset1:68
	ds_load_2addr_b32 v[10:11], v18 offset0:8 offset1:144
	ds_load_2addr_b32 v[12:13], v5 offset0:8 offset1:76
	s_wait_dscnt 0x2
	v_div_scale_f32 v1, null, v9, v9, v6
	s_wait_dscnt 0x0
	v_div_scale_f32 v3, null, v13, v13, v10
	v_div_scale_f32 v22, vcc_lo, v6, v9, v6
	s_delay_alu instid0(VALU_DEP_3) | instskip(NEXT) | instid1(VALU_DEP_2)
	v_rcp_f32_e32 v20, v1
	v_rcp_f32_e32 v21, v3
	v_div_scale_f32 v23, s0, v10, v13, v10
	s_delay_alu instid0(TRANS32_DEP_2) | instskip(NEXT) | instid1(TRANS32_DEP_1)
	v_fma_f32 v14, -v1, v20, 1.0
	v_fma_f32 v15, -v3, v21, 1.0
	s_delay_alu instid0(VALU_DEP_1) | instskip(NEXT) | instid1(VALU_DEP_1)
	v_dual_fmac_f32 v20, v14, v20 :: v_dual_fmac_f32 v21, v15, v21
	v_dual_mul_f32 v24, v22, v20 :: v_dual_mul_f32 v25, v23, v21
	s_delay_alu instid0(VALU_DEP_1) | instskip(SKIP_3) | instid1(VALU_DEP_4)
	v_dual_fma_f32 v16, -v1, v24, v22 :: v_dual_fma_f32 v17, -v3, v25, v23
	v_add_nc_u32_e32 v14, 0x200, v19
	v_add_nc_u32_e32 v5, 0x200, v5
	v_sub_nc_u32_e64 v19, v0, 16 clamp
	v_dual_fmac_f32 v24, v16, v20 :: v_dual_fmac_f32 v25, v17, v21
	ds_load_2addr_b32 v[14:15], v14 offset0:8 offset1:144
	ds_load_2addr_b32 v[16:17], v5 offset0:16 offset1:152
	v_min_u32_e32 v5, 47, v0
	v_dual_fma_f32 v1, -v1, v24, v22 :: v_dual_fma_f32 v3, -v3, v25, v23
	v_lshlrev_b32_e32 v19, 2, v19
	s_wait_dscnt 0x0
	s_delay_alu instid0(VALU_DEP_3) | instskip(NEXT) | instid1(VALU_DEP_3)
	v_lshlrev_b32_e32 v5, 2, v5
	v_div_fmas_f32 v1, v1, v20, v24
	s_mov_b32 vcc_lo, s0
	s_barrier_signal -1
	v_div_fmas_f32 v3, v3, v21, v25
	s_barrier_wait -1
	v_div_fixup_f32 v1, v1, v9, v6
	s_delay_alu instid0(VALU_DEP_2) | instskip(NEXT) | instid1(VALU_DEP_2)
	v_div_fixup_f32 v3, v3, v13, v10
	v_fma_f32 v6, -v1, v14, v7
	v_dual_fma_f32 v7, -v1, v15, v11 :: v_dual_mul_f32 v1, v1, -v8
	s_delay_alu instid0(VALU_DEP_3) | instskip(NEXT) | instid1(VALU_DEP_2)
	v_mul_f32_e64 v8, v3, -v16
	v_dual_fma_f32 v6, -v3, v12, v6 :: v_dual_fma_f32 v3, -v3, v17, v7
	ds_store_2addr_b32 v2, v1, v6 offset1:68
	ds_store_2addr_b32 v18, v8, v3 offset0:8 offset1:144
	s_wait_dscnt 0x0
	s_barrier_signal -1
	s_barrier_wait -1
	ds_load_2addr_b32 v[6:7], v2 offset1:68
	ds_load_2addr_b32 v[8:9], v19 offset1:68
	ds_load_2addr_b32 v[10:11], v18 offset0:8 offset1:144
	ds_load_2addr_b32 v[12:13], v5 offset0:16 offset1:84
	s_wait_dscnt 0x2
	v_div_scale_f32 v1, null, v9, v9, v6
	s_wait_dscnt 0x0
	v_div_scale_f32 v3, null, v13, v13, v10
	v_div_scale_f32 v22, vcc_lo, v6, v9, v6
	s_delay_alu instid0(VALU_DEP_3) | instskip(NEXT) | instid1(VALU_DEP_2)
	v_rcp_f32_e32 v20, v1
	v_rcp_f32_e32 v21, v3
	v_div_scale_f32 v23, s0, v10, v13, v10
	s_delay_alu instid0(TRANS32_DEP_2) | instskip(NEXT) | instid1(TRANS32_DEP_1)
	v_fma_f32 v14, -v1, v20, 1.0
	v_fma_f32 v15, -v3, v21, 1.0
	s_delay_alu instid0(VALU_DEP_1) | instskip(NEXT) | instid1(VALU_DEP_1)
	v_dual_fmac_f32 v20, v14, v20 :: v_dual_fmac_f32 v21, v15, v21
	v_dual_mul_f32 v24, v22, v20 :: v_dual_mul_f32 v25, v23, v21
	s_delay_alu instid0(VALU_DEP_1) | instskip(SKIP_1) | instid1(VALU_DEP_2)
	v_dual_fma_f32 v16, -v1, v24, v22 :: v_dual_fma_f32 v17, -v3, v25, v23
	v_add_nc_u32_e32 v14, 0x200, v19
	v_dual_fmac_f32 v24, v16, v20 :: v_dual_add_nc_u32 v5, 0x200, v5
	s_delay_alu instid0(VALU_DEP_3)
	v_fmac_f32_e32 v25, v17, v21
	ds_load_2addr_b32 v[14:15], v14 offset0:8 offset1:144
	ds_load_2addr_b32 v[16:17], v5 offset0:24 offset1:160
	s_wait_dscnt 0x0
	v_dual_fma_f32 v1, -v1, v24, v22 :: v_dual_fma_f32 v3, -v3, v25, v23
	s_barrier_signal -1
	s_barrier_wait -1
	s_delay_alu instid0(VALU_DEP_1) | instskip(SKIP_3) | instid1(VALU_DEP_3)
	v_div_fmas_f32 v1, v1, v20, v24
	s_mov_b32 vcc_lo, s0
	v_div_fmas_f32 v3, v3, v21, v25
	v_cmp_gt_u32_e32 vcc_lo, 32, v0
	v_div_fixup_f32 v6, v1, v9, v6
	v_ashrrev_i32_e32 v5, 31, v4
	s_delay_alu instid0(VALU_DEP_4) | instskip(NEXT) | instid1(VALU_DEP_2)
	v_div_fixup_f32 v3, v3, v13, v10
	v_lshl_add_u64 v[0:1], v[4:5], 2, s[10:11]
	s_delay_alu instid0(VALU_DEP_4) | instskip(SKIP_1) | instid1(VALU_DEP_4)
	v_fma_f32 v4, -v6, v14, v7
	v_dual_fma_f32 v5, -v6, v15, v11 :: v_dual_mul_f32 v6, v6, -v8
	v_mul_f32_e64 v7, v3, -v16
	s_delay_alu instid0(VALU_DEP_2)
	v_dual_fma_f32 v4, -v3, v12, v4 :: v_dual_fma_f32 v3, -v3, v17, v5
	ds_store_2addr_b32 v2, v6, v4 offset1:68
	ds_store_2addr_b32 v18, v7, v3 offset0:8 offset1:144
	s_wait_dscnt 0x0
	s_barrier_signal -1
	s_barrier_wait -1
	s_and_saveexec_b32 s0, vcc_lo
	s_cbranch_execz .LBB5_2
; %bb.1:
	v_add_nc_u32_e32 v3, 0x220, v2
	v_add_nc_u32_e32 v4, 0x110, v2
	ds_load_b32 v3, v3
	ds_load_b32 v8, v2 offset:128
	ds_load_2addr_b32 v[4:5], v4 offset1:32
	s_wait_dscnt 0x1
	v_dual_mul_f32 v6, v3, v8 :: v_dual_add_nc_u32 v7, 0x440, v2
	s_wait_dscnt 0x0
	s_delay_alu instid0(VALU_DEP_1) | instskip(NEXT) | instid1(VALU_DEP_1)
	v_fma_f32 v9, v5, v4, -v6
	v_div_scale_f32 v10, null, v9, v9, 1.0
	v_div_scale_f32 v12, vcc_lo, 1.0, v9, 1.0
	s_delay_alu instid0(VALU_DEP_2) | instskip(SKIP_1) | instid1(TRANS32_DEP_1)
	v_rcp_f32_e32 v11, v10
	v_nop
	v_fma_f32 v6, -v10, v11, 1.0
	s_delay_alu instid0(VALU_DEP_1) | instskip(SKIP_2) | instid1(VALU_DEP_1)
	v_fmac_f32_e32 v11, v6, v11
	ds_load_2addr_b32 v[6:7], v7 offset1:32
	v_mul_f32_e32 v13, v12, v11
	v_fma_f32 v14, -v10, v13, v12
	s_wait_dscnt 0x0
	s_delay_alu instid0(VALU_DEP_1) | instskip(NEXT) | instid1(VALU_DEP_1)
	v_dual_fmac_f32 v13, v14, v11 :: v_dual_mul_f32 v8, v8, v6
	v_dual_fma_f32 v10, -v10, v13, v12 :: v_dual_mul_f32 v3, v3, v7
	s_delay_alu instid0(VALU_DEP_2) | instskip(NEXT) | instid1(VALU_DEP_2)
	v_fma_f32 v4, v4, v7, -v8
	v_div_fmas_f32 v10, v10, v11, v13
	s_delay_alu instid0(VALU_DEP_3) | instskip(NEXT) | instid1(VALU_DEP_2)
	v_fma_f32 v3, v5, v6, -v3
	v_div_fixup_f32 v5, v10, v9, 1.0
	s_delay_alu instid0(VALU_DEP_1)
	v_dual_mul_f32 v3, v5, v3 :: v_dual_mul_f32 v4, v5, v4
	ds_store_2addr_b32 v2, v3, v4 offset0:204 offset1:236
.LBB5_2:
	s_or_b32 exec_lo, exec_lo, s0
	s_wait_dscnt 0x0
	s_barrier_signal -1
	s_barrier_wait -1
	ds_load_b32 v2, v2 offset:816
	s_wait_dscnt 0x0
	global_store_b32 v[0:1], v2, off
	s_endpgm
	.section	.rodata,"a",@progbits
	.p2align	6, 0x0
	.amdhsa_kernel _ZN9rocsparseL49gtsv_nopivot_strided_batch_pcr_pow2_shared_kernelILj64EfEEviiiPKT0_S3_S3_PS1_
		.amdhsa_group_segment_fixed_size 1348
		.amdhsa_private_segment_fixed_size 0
		.amdhsa_kernarg_size 48
		.amdhsa_user_sgpr_count 2
		.amdhsa_user_sgpr_dispatch_ptr 0
		.amdhsa_user_sgpr_queue_ptr 0
		.amdhsa_user_sgpr_kernarg_segment_ptr 1
		.amdhsa_user_sgpr_dispatch_id 0
		.amdhsa_user_sgpr_kernarg_preload_length 0
		.amdhsa_user_sgpr_kernarg_preload_offset 0
		.amdhsa_user_sgpr_private_segment_size 0
		.amdhsa_wavefront_size32 1
		.amdhsa_uses_dynamic_stack 0
		.amdhsa_enable_private_segment 0
		.amdhsa_system_sgpr_workgroup_id_x 1
		.amdhsa_system_sgpr_workgroup_id_y 0
		.amdhsa_system_sgpr_workgroup_id_z 0
		.amdhsa_system_sgpr_workgroup_info 0
		.amdhsa_system_vgpr_workitem_id 0
		.amdhsa_next_free_vgpr 26
		.amdhsa_next_free_sgpr 12
		.amdhsa_named_barrier_count 0
		.amdhsa_reserve_vcc 1
		.amdhsa_float_round_mode_32 0
		.amdhsa_float_round_mode_16_64 0
		.amdhsa_float_denorm_mode_32 3
		.amdhsa_float_denorm_mode_16_64 3
		.amdhsa_fp16_overflow 0
		.amdhsa_memory_ordered 1
		.amdhsa_forward_progress 1
		.amdhsa_inst_pref_size 18
		.amdhsa_round_robin_scheduling 0
		.amdhsa_exception_fp_ieee_invalid_op 0
		.amdhsa_exception_fp_denorm_src 0
		.amdhsa_exception_fp_ieee_div_zero 0
		.amdhsa_exception_fp_ieee_overflow 0
		.amdhsa_exception_fp_ieee_underflow 0
		.amdhsa_exception_fp_ieee_inexact 0
		.amdhsa_exception_int_div_zero 0
	.end_amdhsa_kernel
	.section	.text._ZN9rocsparseL49gtsv_nopivot_strided_batch_pcr_pow2_shared_kernelILj64EfEEviiiPKT0_S3_S3_PS1_,"axG",@progbits,_ZN9rocsparseL49gtsv_nopivot_strided_batch_pcr_pow2_shared_kernelILj64EfEEviiiPKT0_S3_S3_PS1_,comdat
.Lfunc_end5:
	.size	_ZN9rocsparseL49gtsv_nopivot_strided_batch_pcr_pow2_shared_kernelILj64EfEEviiiPKT0_S3_S3_PS1_, .Lfunc_end5-_ZN9rocsparseL49gtsv_nopivot_strided_batch_pcr_pow2_shared_kernelILj64EfEEviiiPKT0_S3_S3_PS1_
                                        ; -- End function
	.set _ZN9rocsparseL49gtsv_nopivot_strided_batch_pcr_pow2_shared_kernelILj64EfEEviiiPKT0_S3_S3_PS1_.num_vgpr, 26
	.set _ZN9rocsparseL49gtsv_nopivot_strided_batch_pcr_pow2_shared_kernelILj64EfEEviiiPKT0_S3_S3_PS1_.num_agpr, 0
	.set _ZN9rocsparseL49gtsv_nopivot_strided_batch_pcr_pow2_shared_kernelILj64EfEEviiiPKT0_S3_S3_PS1_.numbered_sgpr, 12
	.set _ZN9rocsparseL49gtsv_nopivot_strided_batch_pcr_pow2_shared_kernelILj64EfEEviiiPKT0_S3_S3_PS1_.num_named_barrier, 0
	.set _ZN9rocsparseL49gtsv_nopivot_strided_batch_pcr_pow2_shared_kernelILj64EfEEviiiPKT0_S3_S3_PS1_.private_seg_size, 0
	.set _ZN9rocsparseL49gtsv_nopivot_strided_batch_pcr_pow2_shared_kernelILj64EfEEviiiPKT0_S3_S3_PS1_.uses_vcc, 1
	.set _ZN9rocsparseL49gtsv_nopivot_strided_batch_pcr_pow2_shared_kernelILj64EfEEviiiPKT0_S3_S3_PS1_.uses_flat_scratch, 0
	.set _ZN9rocsparseL49gtsv_nopivot_strided_batch_pcr_pow2_shared_kernelILj64EfEEviiiPKT0_S3_S3_PS1_.has_dyn_sized_stack, 0
	.set _ZN9rocsparseL49gtsv_nopivot_strided_batch_pcr_pow2_shared_kernelILj64EfEEviiiPKT0_S3_S3_PS1_.has_recursion, 0
	.set _ZN9rocsparseL49gtsv_nopivot_strided_batch_pcr_pow2_shared_kernelILj64EfEEviiiPKT0_S3_S3_PS1_.has_indirect_call, 0
	.section	.AMDGPU.csdata,"",@progbits
; Kernel info:
; codeLenInByte = 2200
; TotalNumSgprs: 14
; NumVgprs: 26
; ScratchSize: 0
; MemoryBound: 0
; FloatMode: 240
; IeeeMode: 1
; LDSByteSize: 1348 bytes/workgroup (compile time only)
; SGPRBlocks: 0
; VGPRBlocks: 1
; NumSGPRsForWavesPerEU: 14
; NumVGPRsForWavesPerEU: 26
; NamedBarCnt: 0
; Occupancy: 16
; WaveLimiterHint : 0
; COMPUTE_PGM_RSRC2:SCRATCH_EN: 0
; COMPUTE_PGM_RSRC2:USER_SGPR: 2
; COMPUTE_PGM_RSRC2:TRAP_HANDLER: 0
; COMPUTE_PGM_RSRC2:TGID_X_EN: 1
; COMPUTE_PGM_RSRC2:TGID_Y_EN: 0
; COMPUTE_PGM_RSRC2:TGID_Z_EN: 0
; COMPUTE_PGM_RSRC2:TIDIG_COMP_CNT: 0
	.section	.text._ZN9rocsparseL51gtsv_nopivot_strided_batch_crpcr_pow2_shared_kernelILj64ELj64EfEEviiiPKT1_S3_S3_PS1_,"axG",@progbits,_ZN9rocsparseL51gtsv_nopivot_strided_batch_crpcr_pow2_shared_kernelILj64ELj64EfEEviiiPKT1_S3_S3_PS1_,comdat
	.globl	_ZN9rocsparseL51gtsv_nopivot_strided_batch_crpcr_pow2_shared_kernelILj64ELj64EfEEviiiPKT1_S3_S3_PS1_ ; -- Begin function _ZN9rocsparseL51gtsv_nopivot_strided_batch_crpcr_pow2_shared_kernelILj64ELj64EfEEviiiPKT1_S3_S3_PS1_
	.p2align	8
	.type	_ZN9rocsparseL51gtsv_nopivot_strided_batch_crpcr_pow2_shared_kernelILj64ELj64EfEEviiiPKT1_S3_S3_PS1_,@function
_ZN9rocsparseL51gtsv_nopivot_strided_batch_crpcr_pow2_shared_kernelILj64ELj64EfEEviiiPKT1_S3_S3_PS1_: ; @_ZN9rocsparseL51gtsv_nopivot_strided_batch_crpcr_pow2_shared_kernelILj64ELj64EfEEviiiPKT1_S3_S3_PS1_
; %bb.0:
	s_load_b32 s2, s[0:1], 0x8
	s_bfe_u32 s3, ttmp6, 0x4000c
	s_load_b256 s[4:11], s[0:1], 0x10
	s_add_co_i32 s3, s3, 1
	s_and_b32 s12, ttmp6, 15
	s_wait_xcnt 0x0
	s_mul_i32 s0, ttmp9, s3
	s_getreg_b32 s1, hwreg(HW_REG_IB_STS2, 6, 4)
	s_add_co_i32 s12, s12, s0
	s_cmp_eq_u32 s1, 0
	s_mov_b32 s1, exec_lo
	s_cselect_b32 s0, ttmp9, s12
	v_lshlrev_b32_e32 v1, 2, v0
	s_wait_kmcnt 0x0
	v_mad_u32 v2, s2, s0, v0
	v_cmp_gt_u32_e64 s0, 64, v0
	s_delay_alu instid0(VALU_DEP_2)
	v_add_nc_u32_e32 v4, 64, v2
	s_clause 0x3
	global_load_b32 v3, v2, s[4:5] scale_offset
	global_load_b32 v5, v2, s[6:7] scale_offset
	global_load_b32 v6, v2, s[8:9] scale_offset
	global_load_b32 v7, v2, s[10:11] scale_offset
	s_clause 0x3
	global_load_b32 v8, v4, s[4:5] scale_offset
	global_load_b32 v9, v4, s[6:7] scale_offset
	;; [unrolled: 1-line block ×4, first 2 shown]
	s_wait_loadcnt 0x3
	ds_store_2addr_stride64_b32 v1, v3, v8 offset1:1
	s_wait_loadcnt 0x2
	ds_store_2addr_stride64_b32 v1, v5, v9 offset0:2 offset1:3
	s_wait_loadcnt 0x1
	ds_store_2addr_stride64_b32 v1, v6, v10 offset0:4 offset1:5
	;; [unrolled: 2-line block ×3, first 2 shown]
	s_wait_dscnt 0x0
	s_barrier_signal -1
	s_barrier_wait -1
	v_cmpx_lt_u32_e32 63, v0
	s_xor_b32 s1, exec_lo, s1
	s_delay_alu instid0(SALU_CYCLE_1)
	s_or_saveexec_b32 s2, s1
	v_dual_ashrrev_i32 v3, 31, v2 :: v_dual_mov_b32 v5, 0
	v_or_b32_e32 v9, 0x200, v1
	v_or_b32_e32 v8, 0x400, v1
	;; [unrolled: 1-line block ×3, first 2 shown]
	v_lshlrev_b32_e32 v6, 1, v0
	s_xor_b32 exec_lo, exec_lo, s2
	s_cbranch_execz .LBB6_2
; %bb.1:
	s_delay_alu instid0(VALU_DEP_1) | instskip(SKIP_2) | instid1(VALU_DEP_3)
	v_min_u32_e32 v10, 0x7d, v6
	v_dual_add_nc_u32 v25, v1, v1 :: v_dual_add_nc_u32 v27, v7, v1
	v_dual_add_nc_u32 v26, v9, v1 :: v_dual_add_nc_u32 v24, v8, v1
	v_lshlrev_b32_e32 v20, 2, v10
	ds_load_2addr_b32 v[10:11], v20 offset0:2 offset1:130
	ds_load_b64 v[12:13], v24
	ds_load_b64 v[14:15], v25
	;; [unrolled: 1-line block ×4, first 2 shown]
	v_add_nc_u32_e32 v20, 8, v20
	s_wait_dscnt 0x3
	v_div_scale_f32 v22, null, v11, v11, v13
	s_wait_dscnt 0x1
	v_div_scale_f32 v23, null, v16, v16, v15
	v_div_scale_f32 v31, vcc_lo, v13, v11, v13
	s_delay_alu instid0(VALU_DEP_3) | instskip(NEXT) | instid1(VALU_DEP_2)
	v_rcp_f32_e32 v28, v22
	v_rcp_f32_e32 v29, v23
	v_div_scale_f32 v32, s1, v15, v16, v15
	s_delay_alu instid0(TRANS32_DEP_2) | instskip(NEXT) | instid1(TRANS32_DEP_1)
	v_fma_f32 v21, -v22, v28, 1.0
	v_fma_f32 v30, -v23, v29, 1.0
	s_delay_alu instid0(VALU_DEP_1) | instskip(SKIP_2) | instid1(VALU_DEP_1)
	v_dual_fmac_f32 v28, v21, v28 :: v_dual_fmac_f32 v29, v30, v29
	ds_load_2addr_stride64_b32 v[20:21], v20 offset0:4 offset1:8
	v_dual_mul_f32 v30, v31, v28 :: v_dual_mul_f32 v33, v32, v29
	v_dual_fma_f32 v34, -v22, v30, v31 :: v_dual_fma_f32 v35, -v23, v33, v32
	s_delay_alu instid0(VALU_DEP_1) | instskip(NEXT) | instid1(VALU_DEP_1)
	v_dual_fmac_f32 v30, v34, v28 :: v_dual_fmac_f32 v33, v35, v29
	v_dual_fma_f32 v22, -v22, v30, v31 :: v_dual_fma_f32 v23, -v23, v33, v32
	s_delay_alu instid0(VALU_DEP_1)
	v_div_fmas_f32 v28, v22, v28, v30
	s_mov_b32 vcc_lo, s1
	s_wait_dscnt 0x1
	v_mov_b32_e32 v22, v18
	v_div_fmas_f32 v23, v23, v29, v33
	v_div_fixup_f32 v11, v28, v11, v13
	v_mov_b32_e32 v13, v10
	s_delay_alu instid0(VALU_DEP_3) | instskip(SKIP_2) | instid1(VALU_DEP_2)
	v_div_fixup_f32 v10, v23, v16, v15
	s_wait_dscnt 0x0
	v_mov_b32_e32 v23, v21
	v_pk_mul_f32 v[12:13], v[10:11], v[12:13]
	s_delay_alu instid0(VALU_DEP_2) | instskip(SKIP_1) | instid1(VALU_DEP_2)
	v_pk_mul_f32 v[22:23], v[10:11], v[22:23]
	v_dual_mul_f32 v11, v11, -v20 :: v_dual_mul_f32 v10, v10, -v14
	v_dual_sub_f32 v15, v19, v22 :: v_dual_sub_f32 v12, v17, v12
	s_delay_alu instid0(VALU_DEP_1)
	v_dual_sub_f32 v12, v12, v13 :: v_dual_sub_f32 v13, v15, v23
	ds_store_b32 v26, v12 offset:4
	ds_store_b32 v27, v13 offset:4
	;; [unrolled: 1-line block ×4, first 2 shown]
.LBB6_2:
	s_or_b32 exec_lo, exec_lo, s2
	v_dual_add_nc_u32 v10, v1, v1 :: v_dual_add_nc_u32 v8, v8, v1
	v_dual_add_nc_u32 v9, v9, v1 :: v_dual_add_nc_u32 v7, v7, v1
	s_wait_dscnt 0x0
	s_barrier_signal -1
	s_barrier_wait -1
	ds_load_b32 v10, v10 offset:4
	ds_load_b32 v9, v9 offset:4
	;; [unrolled: 1-line block ×4, first 2 shown]
	v_min_u32_e32 v11, 62, v0
	v_sub_nc_u32_e64 v12, v0, 1 clamp
	s_wait_dscnt 0x2
	ds_store_2addr_stride64_b32 v1, v10, v9 offset0:10 offset1:11
	s_wait_dscnt 0x1
	ds_store_2addr_stride64_b32 v1, v8, v7 offset0:12 offset1:14
	v_dual_lshlrev_b32 v11, 2, v11 :: v_dual_lshlrev_b32 v16, 2, v12
	s_wait_dscnt 0x0
	s_barrier_signal -1
	s_barrier_wait -1
	s_delay_alu instid0(VALU_DEP_1)
	v_add_nc_u32_e32 v18, 4, v11
	ds_load_2addr_stride64_b32 v[8:9], v1 offset0:10 offset1:11
	ds_load_2addr_stride64_b32 v[10:11], v16 offset0:10 offset1:11
	ds_load_2addr_stride64_b32 v[12:13], v1 offset0:12 offset1:14
	ds_load_2addr_stride64_b32 v[14:15], v18 offset0:10 offset1:11
	s_wait_dscnt 0x2
	v_div_scale_f32 v7, null, v11, v11, v8
	s_wait_dscnt 0x0
	v_div_scale_f32 v20, null, v15, v15, v12
	v_div_scale_f32 v23, vcc_lo, v8, v11, v8
	s_delay_alu instid0(VALU_DEP_3) | instskip(NEXT) | instid1(VALU_DEP_2)
	v_rcp_f32_e32 v21, v7
	v_rcp_f32_e32 v22, v20
	v_div_scale_f32 v24, s1, v12, v15, v12
	s_delay_alu instid0(TRANS32_DEP_2) | instskip(NEXT) | instid1(TRANS32_DEP_1)
	v_fma_f32 v17, -v7, v21, 1.0
	v_fma_f32 v19, -v20, v22, 1.0
	s_delay_alu instid0(VALU_DEP_2) | instskip(SKIP_3) | instid1(VALU_DEP_2)
	v_fmac_f32_e32 v21, v17, v21
	ds_load_2addr_stride64_b32 v[16:17], v16 offset0:12 offset1:14
	v_mul_f32_e32 v25, v23, v21
	v_fmac_f32_e32 v22, v19, v22
	v_fma_f32 v19, -v7, v25, v23
	s_delay_alu instid0(VALU_DEP_1)
	v_dual_fmac_f32 v25, v19, v21 :: v_dual_mul_f32 v26, v24, v22
	ds_load_2addr_stride64_b32 v[18:19], v18 offset0:12 offset1:14
	s_wait_dscnt 0x0
	s_barrier_signal -1
	s_barrier_wait -1
	v_fma_f32 v27, -v20, v26, v24
	s_delay_alu instid0(VALU_DEP_1) | instskip(SKIP_3) | instid1(VALU_DEP_2)
	v_fmac_f32_e32 v26, v27, v22
	v_min_u32_e32 v27, 61, v0
	v_fma_f32 v7, -v7, v25, v23
	v_sub_nc_u32_e64 v23, v0, 2 clamp
	v_div_fmas_f32 v7, v7, v21, v25
	s_delay_alu instid0(VALU_DEP_4) | instskip(SKIP_1) | instid1(VALU_DEP_2)
	v_dual_lshlrev_b32 v21, 2, v27 :: v_dual_fma_f32 v20, -v20, v26, v24
	s_mov_b32 vcc_lo, s1
	v_div_fixup_f32 v7, v7, v11, v8
	s_delay_alu instid0(VALU_DEP_2) | instskip(NEXT) | instid1(VALU_DEP_3)
	v_add_nc_u32_e32 v21, 8, v21
	v_div_fmas_f32 v20, v20, v22, v26
	s_delay_alu instid0(VALU_DEP_3) | instskip(NEXT) | instid1(VALU_DEP_2)
	v_dual_lshlrev_b32 v22, 2, v23 :: v_dual_fma_f32 v9, -v7, v16, v9
	v_div_fixup_f32 v8, v20, v15, v12
	v_dual_fma_f32 v11, -v7, v17, v13 :: v_dual_mul_f32 v7, v7, -v10
	s_delay_alu instid0(VALU_DEP_2) | instskip(NEXT) | instid1(VALU_DEP_2)
	v_fma_f32 v9, -v8, v14, v9
	v_dual_mul_f32 v10, v8, -v18 :: v_dual_fma_f32 v8, -v8, v19, v11
	ds_store_2addr_stride64_b32 v1, v7, v9 offset0:10 offset1:11
	ds_store_2addr_stride64_b32 v1, v10, v8 offset0:12 offset1:14
	s_wait_dscnt 0x0
	s_barrier_signal -1
	s_barrier_wait -1
	ds_load_2addr_stride64_b32 v[8:9], v1 offset0:10 offset1:11
	ds_load_2addr_stride64_b32 v[10:11], v22 offset0:10 offset1:11
	;; [unrolled: 1-line block ×4, first 2 shown]
	s_wait_dscnt 0x2
	v_div_scale_f32 v7, null, v11, v11, v8
	s_wait_dscnt 0x0
	v_div_scale_f32 v20, null, v15, v15, v12
	v_div_scale_f32 v25, vcc_lo, v8, v11, v8
	s_delay_alu instid0(VALU_DEP_3) | instskip(NEXT) | instid1(VALU_DEP_2)
	v_rcp_f32_e32 v23, v7
	v_rcp_f32_e32 v24, v20
	v_div_scale_f32 v26, s1, v12, v15, v12
	s_delay_alu instid0(TRANS32_DEP_2) | instskip(NEXT) | instid1(TRANS32_DEP_1)
	v_fma_f32 v16, -v7, v23, 1.0
	v_fma_f32 v17, -v20, v24, 1.0
	s_delay_alu instid0(VALU_DEP_1) | instskip(SKIP_3) | instid1(VALU_DEP_1)
	v_dual_fmac_f32 v23, v16, v23 :: v_dual_fmac_f32 v24, v17, v24
	ds_load_2addr_stride64_b32 v[16:17], v22 offset0:12 offset1:14
	v_min_u32_e32 v22, 59, v0
	v_dual_mul_f32 v27, v25, v23 :: v_dual_mul_f32 v28, v26, v24
	v_dual_fma_f32 v18, -v7, v27, v25 :: v_dual_fma_f32 v19, -v20, v28, v26
	s_delay_alu instid0(VALU_DEP_1)
	v_dual_fmac_f32 v27, v18, v23 :: v_dual_fmac_f32 v28, v19, v24
	ds_load_2addr_stride64_b32 v[18:19], v21 offset0:12 offset1:14
	v_sub_nc_u32_e64 v21, v0, 4 clamp
	v_dual_lshlrev_b32 v22, 2, v22 :: v_dual_fma_f32 v7, -v7, v27, v25
	v_fma_f32 v20, -v20, v28, v26
	s_wait_dscnt 0x0
	s_delay_alu instid0(VALU_DEP_3)
	v_lshlrev_b32_e32 v21, 2, v21
	s_barrier_signal -1
	v_div_fmas_f32 v7, v7, v23, v27
	s_mov_b32 vcc_lo, s1
	s_barrier_wait -1
	v_div_fmas_f32 v20, v20, v24, v28
	s_delay_alu instid0(VALU_DEP_2) | instskip(SKIP_1) | instid1(VALU_DEP_3)
	v_div_fixup_f32 v7, v7, v11, v8
	v_add_nc_u32_e32 v22, 16, v22
	v_div_fixup_f32 v8, v20, v15, v12
	s_delay_alu instid0(VALU_DEP_3) | instskip(SKIP_1) | instid1(VALU_DEP_3)
	v_fma_f32 v9, -v7, v16, v9
	v_dual_fma_f32 v11, -v7, v17, v13 :: v_dual_mul_f32 v7, v7, -v10
	v_mul_f32_e64 v10, v8, -v18
	s_delay_alu instid0(VALU_DEP_2)
	v_dual_fma_f32 v9, -v8, v14, v9 :: v_dual_fma_f32 v8, -v8, v19, v11
	ds_store_2addr_stride64_b32 v1, v7, v9 offset0:10 offset1:11
	ds_store_2addr_stride64_b32 v1, v10, v8 offset0:12 offset1:14
	s_wait_dscnt 0x0
	s_barrier_signal -1
	s_barrier_wait -1
	ds_load_2addr_stride64_b32 v[8:9], v1 offset0:10 offset1:11
	ds_load_2addr_stride64_b32 v[10:11], v21 offset0:10 offset1:11
	ds_load_2addr_stride64_b32 v[12:13], v1 offset0:12 offset1:14
	ds_load_2addr_stride64_b32 v[14:15], v22 offset0:10 offset1:11
	s_wait_dscnt 0x2
	v_div_scale_f32 v7, null, v11, v11, v8
	s_wait_dscnt 0x0
	v_div_scale_f32 v20, null, v15, v15, v12
	v_div_scale_f32 v25, vcc_lo, v8, v11, v8
	s_delay_alu instid0(VALU_DEP_3) | instskip(NEXT) | instid1(VALU_DEP_2)
	v_rcp_f32_e32 v23, v7
	v_rcp_f32_e32 v24, v20
	v_div_scale_f32 v26, s1, v12, v15, v12
	s_delay_alu instid0(TRANS32_DEP_2) | instskip(NEXT) | instid1(TRANS32_DEP_1)
	v_fma_f32 v16, -v7, v23, 1.0
	v_fma_f32 v17, -v20, v24, 1.0
	s_delay_alu instid0(VALU_DEP_1) | instskip(SKIP_3) | instid1(VALU_DEP_1)
	v_dual_fmac_f32 v24, v17, v24 :: v_dual_fmac_f32 v23, v16, v23
	ds_load_2addr_stride64_b32 v[16:17], v21 offset0:12 offset1:14
	v_min_u32_e32 v21, 55, v0
	v_dual_mul_f32 v28, v26, v24 :: v_dual_mul_f32 v27, v25, v23
	v_dual_lshlrev_b32 v21, 2, v21 :: v_dual_fma_f32 v19, -v20, v28, v26
	s_delay_alu instid0(VALU_DEP_1) | instskip(NEXT) | instid1(VALU_DEP_1)
	v_dual_fma_f32 v18, -v7, v27, v25 :: v_dual_add_nc_u32 v21, 32, v21
	v_dual_fmac_f32 v28, v19, v24 :: v_dual_fmac_f32 v27, v18, v23
	ds_load_2addr_stride64_b32 v[18:19], v22 offset0:12 offset1:14
	v_sub_nc_u32_e64 v22, v0, 8 clamp
	s_wait_dscnt 0x0
	v_dual_fma_f32 v20, -v20, v28, v26 :: v_dual_fma_f32 v7, -v7, v27, v25
	s_barrier_signal -1
	s_delay_alu instid0(VALU_DEP_2) | instskip(SKIP_1) | instid1(VALU_DEP_2)
	v_lshlrev_b32_e32 v22, 2, v22
	s_barrier_wait -1
	v_div_fmas_f32 v7, v7, v23, v27
	s_mov_b32 vcc_lo, s1
	v_div_fmas_f32 v20, v20, v24, v28
	s_delay_alu instid0(VALU_DEP_2) | instskip(NEXT) | instid1(VALU_DEP_2)
	v_div_fixup_f32 v7, v7, v11, v8
	v_div_fixup_f32 v8, v20, v15, v12
	s_delay_alu instid0(VALU_DEP_2) | instskip(SKIP_1) | instid1(VALU_DEP_3)
	v_fma_f32 v9, -v7, v16, v9
	v_dual_fma_f32 v11, -v7, v17, v13 :: v_dual_mul_f32 v7, v7, -v10
	v_mul_f32_e64 v10, v8, -v18
	s_delay_alu instid0(VALU_DEP_2)
	v_dual_fma_f32 v9, -v8, v14, v9 :: v_dual_fma_f32 v8, -v8, v19, v11
	ds_store_2addr_stride64_b32 v1, v7, v9 offset0:10 offset1:11
	ds_store_2addr_stride64_b32 v1, v10, v8 offset0:12 offset1:14
	s_wait_dscnt 0x0
	s_barrier_signal -1
	s_barrier_wait -1
	ds_load_2addr_stride64_b32 v[8:9], v1 offset0:10 offset1:11
	ds_load_2addr_stride64_b32 v[10:11], v22 offset0:10 offset1:11
	;; [unrolled: 1-line block ×4, first 2 shown]
	s_wait_dscnt 0x2
	v_div_scale_f32 v7, null, v11, v11, v8
	s_wait_dscnt 0x0
	v_div_scale_f32 v20, null, v15, v15, v12
	v_div_scale_f32 v25, vcc_lo, v8, v11, v8
	s_delay_alu instid0(VALU_DEP_3) | instskip(NEXT) | instid1(VALU_DEP_2)
	v_rcp_f32_e32 v23, v7
	v_rcp_f32_e32 v24, v20
	v_div_scale_f32 v26, s1, v12, v15, v12
	s_delay_alu instid0(TRANS32_DEP_2) | instskip(NEXT) | instid1(TRANS32_DEP_1)
	v_fma_f32 v16, -v7, v23, 1.0
	v_fma_f32 v17, -v20, v24, 1.0
	s_delay_alu instid0(VALU_DEP_1) | instskip(SKIP_3) | instid1(VALU_DEP_1)
	v_dual_fmac_f32 v23, v16, v23 :: v_dual_fmac_f32 v24, v17, v24
	ds_load_2addr_stride64_b32 v[16:17], v22 offset0:12 offset1:14
	v_min_u32_e32 v22, 47, v0
	v_dual_mul_f32 v27, v25, v23 :: v_dual_mul_f32 v28, v26, v24
	v_dual_fma_f32 v18, -v7, v27, v25 :: v_dual_fma_f32 v19, -v20, v28, v26
	s_delay_alu instid0(VALU_DEP_1)
	v_dual_fmac_f32 v27, v18, v23 :: v_dual_fmac_f32 v28, v19, v24
	ds_load_2addr_stride64_b32 v[18:19], v21 offset0:12 offset1:14
	v_sub_nc_u32_e64 v21, v0, 16 clamp
	v_dual_lshlrev_b32 v22, 2, v22 :: v_dual_fma_f32 v7, -v7, v27, v25
	v_fma_f32 v20, -v20, v28, v26
	s_wait_dscnt 0x0
	s_delay_alu instid0(VALU_DEP_3)
	v_lshlrev_b32_e32 v21, 2, v21
	s_barrier_signal -1
	v_div_fmas_f32 v7, v7, v23, v27
	s_mov_b32 vcc_lo, s1
	s_barrier_wait -1
	v_div_fmas_f32 v20, v20, v24, v28
	s_delay_alu instid0(VALU_DEP_2) | instskip(SKIP_1) | instid1(VALU_DEP_3)
	v_div_fixup_f32 v7, v7, v11, v8
	v_add_nc_u32_e32 v22, 64, v22
	v_div_fixup_f32 v8, v20, v15, v12
	s_delay_alu instid0(VALU_DEP_3) | instskip(SKIP_1) | instid1(VALU_DEP_3)
	v_fma_f32 v9, -v7, v16, v9
	v_dual_fma_f32 v11, -v7, v17, v13 :: v_dual_mul_f32 v7, v7, -v10
	v_mul_f32_e64 v10, v8, -v18
	s_delay_alu instid0(VALU_DEP_2)
	v_dual_fma_f32 v9, -v8, v14, v9 :: v_dual_fma_f32 v8, -v8, v19, v11
	ds_store_2addr_stride64_b32 v1, v7, v9 offset0:10 offset1:11
	ds_store_2addr_stride64_b32 v1, v10, v8 offset0:12 offset1:14
	s_wait_dscnt 0x0
	s_barrier_signal -1
	s_barrier_wait -1
	ds_load_2addr_stride64_b32 v[8:9], v1 offset0:10 offset1:11
	ds_load_2addr_stride64_b32 v[10:11], v21 offset0:10 offset1:11
	;; [unrolled: 1-line block ×4, first 2 shown]
	s_wait_dscnt 0x2
	v_div_scale_f32 v7, null, v11, v11, v8
	s_wait_dscnt 0x0
	v_div_scale_f32 v20, null, v15, v15, v12
	v_div_scale_f32 v25, vcc_lo, v8, v11, v8
	s_delay_alu instid0(VALU_DEP_3) | instskip(NEXT) | instid1(VALU_DEP_2)
	v_rcp_f32_e32 v23, v7
	v_rcp_f32_e32 v24, v20
	v_div_scale_f32 v26, s1, v12, v15, v12
	s_delay_alu instid0(TRANS32_DEP_2) | instskip(NEXT) | instid1(TRANS32_DEP_1)
	v_fma_f32 v16, -v7, v23, 1.0
	v_fma_f32 v17, -v20, v24, 1.0
	s_delay_alu instid0(VALU_DEP_1) | instskip(SKIP_2) | instid1(VALU_DEP_1)
	v_dual_fmac_f32 v24, v17, v24 :: v_dual_fmac_f32 v23, v16, v23
	ds_load_2addr_stride64_b32 v[16:17], v21 offset0:12 offset1:14
	v_dual_mul_f32 v28, v26, v24 :: v_dual_mul_f32 v27, v25, v23
	v_dual_fma_f32 v19, -v20, v28, v26 :: v_dual_fma_f32 v18, -v7, v27, v25
	s_delay_alu instid0(VALU_DEP_1)
	v_dual_fmac_f32 v28, v19, v24 :: v_dual_fmac_f32 v27, v18, v23
	ds_load_2addr_stride64_b32 v[18:19], v22 offset0:12 offset1:14
	s_wait_dscnt 0x0
	s_barrier_signal -1
	s_barrier_wait -1
	v_fma_f32 v7, -v7, v27, v25
	s_delay_alu instid0(VALU_DEP_1) | instskip(SKIP_2) | instid1(VALU_DEP_1)
	v_div_fmas_f32 v7, v7, v23, v27
	s_mov_b32 vcc_lo, s1
	s_mov_b32 s1, exec_lo
	v_div_fixup_f32 v7, v7, v11, v8
	s_delay_alu instid0(VALU_DEP_1) | instskip(NEXT) | instid1(VALU_DEP_1)
	v_dual_fma_f32 v20, -v20, v28, v26 :: v_dual_fma_f32 v11, -v7, v17, v13
	v_div_fmas_f32 v20, v20, v24, v28
	v_dual_fma_f32 v9, -v7, v16, v9 :: v_dual_mul_f32 v7, v7, -v10
	s_delay_alu instid0(VALU_DEP_2) | instskip(NEXT) | instid1(VALU_DEP_1)
	v_div_fixup_f32 v8, v20, v15, v12
	v_fma_f32 v9, -v8, v14, v9
	v_dual_mul_f32 v10, v8, -v18 :: v_dual_fma_f32 v8, -v8, v19, v11
	ds_store_2addr_stride64_b32 v1, v7, v9 offset0:10 offset1:11
	ds_store_2addr_stride64_b32 v1, v10, v8 offset0:12 offset1:14
	s_wait_dscnt 0x0
	s_barrier_signal -1
	s_barrier_wait -1
	v_cmpx_gt_u32_e32 32, v0
	s_cbranch_execz .LBB6_4
; %bb.3:
	v_or_b32_e32 v7, 0xc00, v1
	v_or_b32_e32 v8, 0xa00, v1
	;; [unrolled: 1-line block ×4, first 2 shown]
	ds_load_b32 v7, v7
	ds_load_b32 v12, v8 offset:128
	ds_load_2addr_b32 v[8:9], v9 offset1:32
	s_wait_dscnt 0x1
	v_mul_f32_e32 v10, v7, v12
	s_wait_dscnt 0x0
	s_delay_alu instid0(VALU_DEP_1) | instskip(NEXT) | instid1(VALU_DEP_1)
	v_fma_f32 v13, v9, v8, -v10
	v_div_scale_f32 v14, null, v13, v13, 1.0
	s_delay_alu instid0(VALU_DEP_1) | instskip(SKIP_1) | instid1(TRANS32_DEP_1)
	v_rcp_f32_e32 v15, v14
	v_nop
	v_fma_f32 v10, -v14, v15, 1.0
	s_delay_alu instid0(VALU_DEP_1) | instskip(SKIP_3) | instid1(VALU_DEP_1)
	v_fmac_f32_e32 v15, v10, v15
	v_div_scale_f32 v16, vcc_lo, 1.0, v13, 1.0
	ds_load_2addr_b32 v[10:11], v11 offset1:32
	v_mul_f32_e32 v17, v16, v15
	v_fma_f32 v18, -v14, v17, v16
	s_wait_dscnt 0x0
	s_delay_alu instid0(VALU_DEP_1) | instskip(NEXT) | instid1(VALU_DEP_1)
	v_dual_fmac_f32 v17, v18, v15 :: v_dual_mul_f32 v12, v12, v10
	v_dual_fma_f32 v14, -v14, v17, v16 :: v_dual_mul_f32 v7, v7, v11
	s_delay_alu instid0(VALU_DEP_2) | instskip(NEXT) | instid1(VALU_DEP_2)
	v_fma_f32 v8, v8, v11, -v12
	v_div_fmas_f32 v14, v14, v15, v17
	s_delay_alu instid0(VALU_DEP_3) | instskip(NEXT) | instid1(VALU_DEP_2)
	v_fma_f32 v7, v9, v10, -v7
	v_div_fixup_f32 v9, v14, v13, 1.0
	s_delay_alu instid0(VALU_DEP_1)
	v_dual_mul_f32 v8, v9, v8 :: v_dual_mul_f32 v7, v9, v7
	v_add_nc_u32_e32 v9, 0xc00, v1
	ds_store_2addr_b32 v9, v7, v8 offset0:64 offset1:96
.LBB6_4:
	s_or_b32 exec_lo, exec_lo, s1
	s_wait_dscnt 0x0
	s_barrier_signal -1
	s_barrier_wait -1
	ds_load_b32 v8, v1 offset:3328
	v_lshlrev_b32_e32 v9, 3, v0
	v_lshl_add_u64 v[2:3], v[2:3], 2, s[10:11]
	v_lshl_add_u64 v[4:5], v[4:5], 2, s[10:11]
	s_delay_alu instid0(VALU_DEP_3)
	v_or_b32_e32 v7, 0x600, v9
	s_wait_dscnt 0x0
	ds_store_b32 v9, v8 offset:1540
	s_wait_dscnt 0x0
	s_barrier_signal -1
	s_barrier_wait -1
	s_and_saveexec_b32 s1, s0
	s_cbranch_execz .LBB6_9
; %bb.5:
	v_lshlrev_b32_e32 v8, 2, v6
	s_mov_b32 s0, exec_lo
	ds_load_b32 v6, v8 offset:2048
	v_cmpx_ne_u32_e32 0, v0
	s_xor_b32 s0, exec_lo, s0
	s_cbranch_execz .LBB6_7
; %bb.6:
	v_add_nc_u32_e32 v0, -4, v7
	ds_load_2addr_stride64_b32 v[10:11], v8 offset1:2
	ds_load_b32 v12, v0
	ds_load_b32 v9, v8 offset:1024
	ds_load_b32 v13, v7 offset:4
	s_wait_dscnt 0x3
	v_mov_b32_e32 v8, v10
	s_wait_dscnt 0x0
	s_delay_alu instid0(VALU_DEP_1) | instskip(NEXT) | instid1(VALU_DEP_1)
	v_pk_mul_f32 v[8:9], v[8:9], v[12:13]
	v_sub_f32_e32 v0, v6, v8
	s_delay_alu instid0(VALU_DEP_1) | instskip(NEXT) | instid1(VALU_DEP_1)
	v_sub_f32_e32 v0, v0, v9
	v_div_scale_f32 v6, null, v11, v11, v0
	s_delay_alu instid0(VALU_DEP_1) | instskip(SKIP_1) | instid1(TRANS32_DEP_1)
	v_rcp_f32_e32 v8, v6
	v_nop
	v_fma_f32 v9, -v6, v8, 1.0
	s_delay_alu instid0(VALU_DEP_1) | instskip(SKIP_1) | instid1(VALU_DEP_1)
	v_fmac_f32_e32 v8, v9, v8
	v_div_scale_f32 v9, vcc_lo, v0, v11, v0
	v_mul_f32_e32 v10, v9, v8
	s_delay_alu instid0(VALU_DEP_1) | instskip(NEXT) | instid1(VALU_DEP_1)
	v_fma_f32 v12, -v6, v10, v9
	v_fmac_f32_e32 v10, v12, v8
	s_delay_alu instid0(VALU_DEP_1) | instskip(NEXT) | instid1(VALU_DEP_1)
	v_fma_f32 v6, -v6, v10, v9
	v_div_fmas_f32 v6, v6, v8, v10
                                        ; implicit-def: $vgpr8
	s_delay_alu instid0(VALU_DEP_1)
	v_div_fixup_f32 v0, v6, v11, v0
                                        ; implicit-def: $vgpr6
	ds_store_b32 v7, v0
.LBB6_7:
	s_and_not1_saveexec_b32 s0, s0
	s_cbranch_execz .LBB6_9
; %bb.8:
	ds_load_2addr_stride64_b32 v[8:9], v8 offset0:2 offset1:4
	ds_load_b32 v0, v7 offset:4
	s_wait_dscnt 0x0
	v_fma_f32 v0, -v9, v0, v6
	s_delay_alu instid0(VALU_DEP_1) | instskip(NEXT) | instid1(VALU_DEP_1)
	v_div_scale_f32 v6, null, v8, v8, v0
	v_rcp_f32_e32 v9, v6
	v_nop
	s_delay_alu instid0(TRANS32_DEP_1) | instskip(NEXT) | instid1(VALU_DEP_1)
	v_fma_f32 v10, -v6, v9, 1.0
	v_fmac_f32_e32 v9, v10, v9
	v_div_scale_f32 v10, vcc_lo, v0, v8, v0
	s_delay_alu instid0(VALU_DEP_1) | instskip(NEXT) | instid1(VALU_DEP_1)
	v_mul_f32_e32 v11, v10, v9
	v_fma_f32 v12, -v6, v11, v10
	s_delay_alu instid0(VALU_DEP_1) | instskip(NEXT) | instid1(VALU_DEP_1)
	v_fmac_f32_e32 v11, v12, v9
	v_fma_f32 v6, -v6, v11, v10
	s_delay_alu instid0(VALU_DEP_1) | instskip(NEXT) | instid1(VALU_DEP_1)
	v_div_fmas_f32 v6, v6, v9, v11
	v_div_fixup_f32 v0, v6, v8, v0
	ds_store_b32 v7, v0
.LBB6_9:
	s_or_b32 exec_lo, exec_lo, s1
	v_sub_nc_u32_e32 v0, v7, v1
	s_wait_dscnt 0x0
	s_barrier_signal -1
	s_barrier_wait -1
	ds_load_2addr_stride64_b32 v[0:1], v0 offset1:1
	s_wait_dscnt 0x0
	s_clause 0x1
	global_store_b32 v[2:3], v0, off
	global_store_b32 v[4:5], v1, off
	s_endpgm
	.section	.rodata,"a",@progbits
	.p2align	6, 0x0
	.amdhsa_kernel _ZN9rocsparseL51gtsv_nopivot_strided_batch_crpcr_pow2_shared_kernelILj64ELj64EfEEviiiPKT1_S3_S3_PS1_
		.amdhsa_group_segment_fixed_size 3840
		.amdhsa_private_segment_fixed_size 0
		.amdhsa_kernarg_size 48
		.amdhsa_user_sgpr_count 2
		.amdhsa_user_sgpr_dispatch_ptr 0
		.amdhsa_user_sgpr_queue_ptr 0
		.amdhsa_user_sgpr_kernarg_segment_ptr 1
		.amdhsa_user_sgpr_dispatch_id 0
		.amdhsa_user_sgpr_kernarg_preload_length 0
		.amdhsa_user_sgpr_kernarg_preload_offset 0
		.amdhsa_user_sgpr_private_segment_size 0
		.amdhsa_wavefront_size32 1
		.amdhsa_uses_dynamic_stack 0
		.amdhsa_enable_private_segment 0
		.amdhsa_system_sgpr_workgroup_id_x 1
		.amdhsa_system_sgpr_workgroup_id_y 0
		.amdhsa_system_sgpr_workgroup_id_z 0
		.amdhsa_system_sgpr_workgroup_info 0
		.amdhsa_system_vgpr_workitem_id 0
		.amdhsa_next_free_vgpr 36
		.amdhsa_next_free_sgpr 13
		.amdhsa_named_barrier_count 0
		.amdhsa_reserve_vcc 1
		.amdhsa_float_round_mode_32 0
		.amdhsa_float_round_mode_16_64 0
		.amdhsa_float_denorm_mode_32 3
		.amdhsa_float_denorm_mode_16_64 3
		.amdhsa_fp16_overflow 0
		.amdhsa_memory_ordered 1
		.amdhsa_forward_progress 1
		.amdhsa_inst_pref_size 26
		.amdhsa_round_robin_scheduling 0
		.amdhsa_exception_fp_ieee_invalid_op 0
		.amdhsa_exception_fp_denorm_src 0
		.amdhsa_exception_fp_ieee_div_zero 0
		.amdhsa_exception_fp_ieee_overflow 0
		.amdhsa_exception_fp_ieee_underflow 0
		.amdhsa_exception_fp_ieee_inexact 0
		.amdhsa_exception_int_div_zero 0
	.end_amdhsa_kernel
	.section	.text._ZN9rocsparseL51gtsv_nopivot_strided_batch_crpcr_pow2_shared_kernelILj64ELj64EfEEviiiPKT1_S3_S3_PS1_,"axG",@progbits,_ZN9rocsparseL51gtsv_nopivot_strided_batch_crpcr_pow2_shared_kernelILj64ELj64EfEEviiiPKT1_S3_S3_PS1_,comdat
.Lfunc_end6:
	.size	_ZN9rocsparseL51gtsv_nopivot_strided_batch_crpcr_pow2_shared_kernelILj64ELj64EfEEviiiPKT1_S3_S3_PS1_, .Lfunc_end6-_ZN9rocsparseL51gtsv_nopivot_strided_batch_crpcr_pow2_shared_kernelILj64ELj64EfEEviiiPKT1_S3_S3_PS1_
                                        ; -- End function
	.set _ZN9rocsparseL51gtsv_nopivot_strided_batch_crpcr_pow2_shared_kernelILj64ELj64EfEEviiiPKT1_S3_S3_PS1_.num_vgpr, 36
	.set _ZN9rocsparseL51gtsv_nopivot_strided_batch_crpcr_pow2_shared_kernelILj64ELj64EfEEviiiPKT1_S3_S3_PS1_.num_agpr, 0
	.set _ZN9rocsparseL51gtsv_nopivot_strided_batch_crpcr_pow2_shared_kernelILj64ELj64EfEEviiiPKT1_S3_S3_PS1_.numbered_sgpr, 13
	.set _ZN9rocsparseL51gtsv_nopivot_strided_batch_crpcr_pow2_shared_kernelILj64ELj64EfEEviiiPKT1_S3_S3_PS1_.num_named_barrier, 0
	.set _ZN9rocsparseL51gtsv_nopivot_strided_batch_crpcr_pow2_shared_kernelILj64ELj64EfEEviiiPKT1_S3_S3_PS1_.private_seg_size, 0
	.set _ZN9rocsparseL51gtsv_nopivot_strided_batch_crpcr_pow2_shared_kernelILj64ELj64EfEEviiiPKT1_S3_S3_PS1_.uses_vcc, 1
	.set _ZN9rocsparseL51gtsv_nopivot_strided_batch_crpcr_pow2_shared_kernelILj64ELj64EfEEviiiPKT1_S3_S3_PS1_.uses_flat_scratch, 0
	.set _ZN9rocsparseL51gtsv_nopivot_strided_batch_crpcr_pow2_shared_kernelILj64ELj64EfEEviiiPKT1_S3_S3_PS1_.has_dyn_sized_stack, 0
	.set _ZN9rocsparseL51gtsv_nopivot_strided_batch_crpcr_pow2_shared_kernelILj64ELj64EfEEviiiPKT1_S3_S3_PS1_.has_recursion, 0
	.set _ZN9rocsparseL51gtsv_nopivot_strided_batch_crpcr_pow2_shared_kernelILj64ELj64EfEEviiiPKT1_S3_S3_PS1_.has_indirect_call, 0
	.section	.AMDGPU.csdata,"",@progbits
; Kernel info:
; codeLenInByte = 3232
; TotalNumSgprs: 15
; NumVgprs: 36
; ScratchSize: 0
; MemoryBound: 0
; FloatMode: 240
; IeeeMode: 1
; LDSByteSize: 3840 bytes/workgroup (compile time only)
; SGPRBlocks: 0
; VGPRBlocks: 2
; NumSGPRsForWavesPerEU: 15
; NumVGPRsForWavesPerEU: 36
; NamedBarCnt: 0
; Occupancy: 16
; WaveLimiterHint : 0
; COMPUTE_PGM_RSRC2:SCRATCH_EN: 0
; COMPUTE_PGM_RSRC2:USER_SGPR: 2
; COMPUTE_PGM_RSRC2:TRAP_HANDLER: 0
; COMPUTE_PGM_RSRC2:TGID_X_EN: 1
; COMPUTE_PGM_RSRC2:TGID_Y_EN: 0
; COMPUTE_PGM_RSRC2:TGID_Z_EN: 0
; COMPUTE_PGM_RSRC2:TIDIG_COMP_CNT: 0
	.section	.text._ZN9rocsparseL51gtsv_nopivot_strided_batch_crpcr_pow2_shared_kernelILj128ELj64EfEEviiiPKT1_S3_S3_PS1_,"axG",@progbits,_ZN9rocsparseL51gtsv_nopivot_strided_batch_crpcr_pow2_shared_kernelILj128ELj64EfEEviiiPKT1_S3_S3_PS1_,comdat
	.globl	_ZN9rocsparseL51gtsv_nopivot_strided_batch_crpcr_pow2_shared_kernelILj128ELj64EfEEviiiPKT1_S3_S3_PS1_ ; -- Begin function _ZN9rocsparseL51gtsv_nopivot_strided_batch_crpcr_pow2_shared_kernelILj128ELj64EfEEviiiPKT1_S3_S3_PS1_
	.p2align	8
	.type	_ZN9rocsparseL51gtsv_nopivot_strided_batch_crpcr_pow2_shared_kernelILj128ELj64EfEEviiiPKT1_S3_S3_PS1_,@function
_ZN9rocsparseL51gtsv_nopivot_strided_batch_crpcr_pow2_shared_kernelILj128ELj64EfEEviiiPKT1_S3_S3_PS1_: ; @_ZN9rocsparseL51gtsv_nopivot_strided_batch_crpcr_pow2_shared_kernelILj128ELj64EfEEviiiPKT1_S3_S3_PS1_
; %bb.0:
	s_load_b32 s2, s[0:1], 0x8
	s_bfe_u32 s3, ttmp6, 0x4000c
	s_load_b256 s[4:11], s[0:1], 0x10
	s_add_co_i32 s3, s3, 1
	s_and_b32 s12, ttmp6, 15
	s_wait_xcnt 0x0
	s_mul_i32 s0, ttmp9, s3
	s_getreg_b32 s1, hwreg(HW_REG_IB_STS2, 6, 4)
	s_add_co_i32 s12, s12, s0
	s_cmp_eq_u32 s1, 0
	v_dual_lshlrev_b32 v1, 2, v0 :: v_dual_add_nc_u32 v13, 1, v0
	s_cselect_b32 s0, ttmp9, s12
	s_wait_kmcnt 0x0
	v_mad_u32 v2, s2, s0, v0
	v_cmp_gt_u32_e64 s0, 0x80, v0
	s_delay_alu instid0(VALU_DEP_2)
	v_add_nc_u32_e32 v4, 0x80, v2
	s_clause 0x3
	global_load_b32 v3, v2, s[4:5] scale_offset
	global_load_b32 v5, v2, s[6:7] scale_offset
	;; [unrolled: 1-line block ×4, first 2 shown]
	s_clause 0x3
	global_load_b32 v8, v4, s[4:5] scale_offset
	global_load_b32 v9, v4, s[6:7] scale_offset
	;; [unrolled: 1-line block ×4, first 2 shown]
	s_wait_loadcnt 0x3
	ds_store_2addr_stride64_b32 v1, v3, v8 offset1:2
	s_wait_loadcnt 0x2
	ds_store_2addr_stride64_b32 v1, v5, v9 offset0:4 offset1:6
	s_wait_loadcnt 0x1
	ds_store_2addr_stride64_b32 v1, v6, v10 offset0:8 offset1:10
	;; [unrolled: 2-line block ×3, first 2 shown]
	s_wait_dscnt 0x0
	s_barrier_signal -1
	s_barrier_wait -1
	s_and_saveexec_b32 s2, s0
	s_cbranch_execz .LBB7_2
; %bb.1:
	v_dual_lshlrev_b32 v3, 1, v13 :: v_dual_lshlrev_b32 v5, 3, v13
	s_delay_alu instid0(VALU_DEP_1) | instskip(NEXT) | instid1(VALU_DEP_1)
	v_min_u32_e32 v3, 0xff, v3
	v_dual_add_nc_u32 v12, -8, v5 :: v_dual_lshlrev_b32 v3, 2, v3
	ds_load_2addr_b64 v[6:9], v5 offset0:127 offset1:255
	ds_load_2addr_stride64_b32 v[10:11], v3 offset1:4
	ds_load_b64 v[14:15], v12
	ds_load_b64 v[16:17], v5 offset:4088
	s_wait_dscnt 0x2
	v_div_scale_f32 v12, null, v11, v11, v9
	s_wait_dscnt 0x1
	v_div_scale_f32 v20, null, v6, v6, v15
	v_div_scale_f32 v23, vcc_lo, v9, v11, v9
	s_delay_alu instid0(VALU_DEP_3) | instskip(NEXT) | instid1(VALU_DEP_2)
	v_rcp_f32_e32 v21, v12
	v_rcp_f32_e32 v22, v20
	v_div_scale_f32 v24, s1, v15, v6, v15
	s_delay_alu instid0(TRANS32_DEP_2) | instskip(NEXT) | instid1(TRANS32_DEP_1)
	v_fma_f32 v18, -v12, v21, 1.0
	v_fma_f32 v19, -v20, v22, 1.0
	s_delay_alu instid0(VALU_DEP_1) | instskip(SKIP_2) | instid1(VALU_DEP_1)
	v_dual_fmac_f32 v21, v18, v21 :: v_dual_fmac_f32 v22, v19, v22
	ds_load_2addr_stride64_b32 v[18:19], v3 offset0:8 offset1:16
	v_dual_mul_f32 v25, v23, v21 :: v_dual_mul_f32 v26, v24, v22
	v_fma_f32 v3, -v20, v26, v24
	s_delay_alu instid0(VALU_DEP_1) | instskip(NEXT) | instid1(VALU_DEP_1)
	v_dual_fma_f32 v27, -v12, v25, v23 :: v_dual_fmac_f32 v26, v3, v22
	v_fmac_f32_e32 v25, v27, v21
	s_delay_alu instid0(VALU_DEP_1) | instskip(NEXT) | instid1(VALU_DEP_3)
	v_fma_f32 v3, -v12, v25, v23
	v_fma_f32 v12, -v20, v26, v24
	s_wait_dscnt 0x1
	v_mov_b32_e32 v20, v16
	s_delay_alu instid0(VALU_DEP_3) | instskip(SKIP_3) | instid1(VALU_DEP_2)
	v_div_fmas_f32 v3, v3, v21, v25
	s_mov_b32 vcc_lo, s1
	s_wait_dscnt 0x0
	v_mov_b32_e32 v21, v19
	v_div_fixup_f32 v23, v3, v11, v9
	v_mov_b32_e32 v9, v10
	v_div_fmas_f32 v12, v12, v22, v26
	s_delay_alu instid0(VALU_DEP_1) | instskip(NEXT) | instid1(VALU_DEP_1)
	v_div_fixup_f32 v22, v12, v6, v15
	v_pk_mul_f32 v[10:11], v[22:23], v[20:21]
	s_delay_alu instid0(VALU_DEP_4) | instskip(NEXT) | instid1(VALU_DEP_2)
	v_pk_mul_f32 v[8:9], v[22:23], v[8:9]
	v_dual_sub_f32 v3, v17, v10 :: v_dual_add_nc_u32 v6, -4, v5
	s_delay_alu instid0(VALU_DEP_2) | instskip(SKIP_1) | instid1(VALU_DEP_3)
	v_dual_sub_f32 v7, v7, v8 :: v_dual_add_nc_u32 v8, 0xfc, v5
	v_mul_f32_e64 v10, v23, -v18
	v_dual_sub_f32 v3, v3, v11 :: v_dual_mul_f32 v11, v22, -v14
	s_delay_alu instid0(VALU_DEP_3)
	v_sub_f32_e32 v7, v7, v9
	ds_store_b32 v5, v3 offset:4092
	ds_store_b32 v6, v11
	ds_store_2addr_stride64_b32 v8, v7, v10 offset0:3 offset1:7
.LBB7_2:
	s_or_b32 exec_lo, exec_lo, s2
	v_cmp_gt_u32_e64 s1, 64, v0
	v_lshlrev_b32_e32 v10, 4, v13
	s_wait_dscnt 0x0
	s_barrier_signal -1
	s_barrier_wait -1
	s_and_saveexec_b32 s3, s1
	s_cbranch_execz .LBB7_4
; %bb.3:
	v_lshl_or_b32 v3, v13, 2, 1
	v_add_nc_u32_e32 v8, 0x400, v10
	s_delay_alu instid0(VALU_DEP_2) | instskip(NEXT) | instid1(VALU_DEP_1)
	v_min_u32_e32 v3, 0xff, v3
	v_dual_add_nc_u32 v5, -4, v10 :: v_dual_lshlrev_b32 v3, 2, v3
	ds_load_2addr_b32 v[6:7], v10 offset0:253 offset1:255
	ds_load_b32 v11, v5
	ds_load_2addr_b32 v[8:9], v8 offset0:253 offset1:255
	ds_load_2addr_stride64_b32 v[14:15], v3 offset1:4
	ds_load_2addr_stride64_b32 v[18:19], v3 offset0:8 offset1:16
	s_wait_dscnt 0x3
	v_div_scale_f32 v20, null, v6, v6, v11
	s_wait_dscnt 0x1
	v_div_scale_f32 v21, null, v15, v15, v9
	v_div_scale_f32 v25, s2, v9, v15, v9
	s_delay_alu instid0(VALU_DEP_3) | instskip(NEXT) | instid1(VALU_DEP_2)
	v_rcp_f32_e32 v22, v20
	v_rcp_f32_e32 v23, v21
	v_div_scale_f32 v24, vcc_lo, v11, v6, v11
	s_delay_alu instid0(TRANS32_DEP_2) | instskip(NEXT) | instid1(TRANS32_DEP_1)
	v_fma_f32 v16, -v20, v22, 1.0
	v_fma_f32 v17, -v21, v23, 1.0
	s_delay_alu instid0(VALU_DEP_1) | instskip(NEXT) | instid1(VALU_DEP_1)
	v_dual_fmac_f32 v23, v17, v23 :: v_dual_add_nc_u32 v12, -12, v10
	v_dual_mul_f32 v27, v25, v23 :: v_dual_fmac_f32 v22, v16, v22
	ds_load_b32 v12, v12
	v_fma_f32 v3, -v21, v27, v25
	s_delay_alu instid0(VALU_DEP_1) | instskip(SKIP_3) | instid1(VALU_DEP_1)
	v_dual_fmac_f32 v27, v3, v23 :: v_dual_add_nc_u32 v16, 0xc00, v10
	v_mul_f32_e32 v26, v24, v22
	ds_load_2addr_b32 v[16:17], v16 offset0:253 offset1:255
	v_fma_f32 v28, -v20, v26, v24
	v_fmac_f32_e32 v26, v28, v22
	s_delay_alu instid0(VALU_DEP_1) | instskip(SKIP_2) | instid1(VALU_DEP_2)
	v_dual_fma_f32 v3, -v20, v26, v24 :: v_dual_fma_f32 v20, -v21, v27, v25
	s_wait_dscnt 0x2
	v_mov_b32_e32 v21, v19
	v_div_fmas_f32 v3, v3, v22, v26
	s_mov_b32 vcc_lo, s2
	v_div_fmas_f32 v23, v20, v23, v27
	s_wait_dscnt 0x0
	v_mov_b32_e32 v20, v16
	v_div_fixup_f32 v22, v3, v6, v11
	s_delay_alu instid0(VALU_DEP_3) | instskip(SKIP_1) | instid1(VALU_DEP_2)
	v_div_fixup_f32 v23, v23, v15, v9
	v_mov_b32_e32 v9, v14
	v_pk_mul_f32 v[14:15], v[22:23], v[20:21]
	s_delay_alu instid0(VALU_DEP_2) | instskip(SKIP_1) | instid1(VALU_DEP_2)
	v_pk_mul_f32 v[8:9], v[22:23], v[8:9]
	v_mul_f32_e64 v11, v23, -v18
	v_dual_sub_f32 v3, v17, v14 :: v_dual_sub_f32 v6, v7, v8
	v_mul_f32_e64 v8, v22, -v12
	v_add_nc_u32_e32 v7, 0xfc, v10
	s_delay_alu instid0(VALU_DEP_3)
	v_dual_sub_f32 v3, v3, v15 :: v_dual_sub_f32 v6, v6, v9
	ds_store_b32 v10, v3 offset:4092
	ds_store_b32 v5, v8
	ds_store_2addr_stride64_b32 v7, v6, v11 offset0:3 offset1:7
.LBB7_4:
	s_or_b32 exec_lo, exec_lo, s3
	s_wait_dscnt 0x0
	s_barrier_signal -1
	s_barrier_wait -1
	s_and_saveexec_b32 s2, s1
	s_cbranch_execz .LBB7_6
; %bb.5:
	v_add_nc_u32_e32 v3, 0xfc, v10
	v_add_nc_u32_e32 v5, -4, v10
	ds_load_2addr_stride64_b32 v[6:7], v3 offset0:3 offset1:7
	ds_load_b32 v3, v5
	ds_load_b32 v5, v10 offset:4092
	s_wait_dscnt 0x1
	ds_store_2addr_stride64_b32 v1, v3, v6 offset0:20 offset1:21
	s_wait_dscnt 0x1
	ds_store_2addr_stride64_b32 v1, v7, v5 offset0:22 offset1:24
.LBB7_6:
	s_or_b32 exec_lo, exec_lo, s2
	v_or_b32_e32 v5, 0x1400, v1
	v_or_b32_e32 v12, 0x1600, v1
	v_add_nc_u32_e32 v11, 0x1500, v1
	v_or_b32_e32 v3, 0x1800, v1
	s_wait_dscnt 0x0
	s_barrier_signal -1
	s_barrier_wait -1
                                        ; implicit-def: $vgpr6_vgpr7
                                        ; implicit-def: $vgpr8_vgpr9
	s_and_saveexec_b32 s3, s1
	s_cbranch_execz .LBB7_8
; %bb.7:
	v_sub_nc_u32_e64 v6, v0, 1 clamp
	v_min_u32_e32 v8, 63, v13
	s_delay_alu instid0(VALU_DEP_1)
	v_dual_lshlrev_b32 v16, 2, v6 :: v_dual_lshlrev_b32 v18, 2, v8
	ds_load_b32 v13, v5
	ds_load_2addr_stride64_b32 v[6:7], v16 offset0:20 offset1:21
	ds_load_2addr_stride64_b32 v[8:9], v18 offset0:20 offset1:21
	ds_load_b32 v23, v12
	ds_load_b32 v15, v11
	ds_load_b32 v14, v3
	s_wait_dscnt 0x2
	v_div_scale_f32 v22, null, v9, v9, v23
	v_div_scale_f32 v20, null, v7, v7, v13
	v_div_scale_f32 v25, vcc_lo, v13, v7, v13
	s_delay_alu instid0(VALU_DEP_3) | instskip(NEXT) | instid1(VALU_DEP_2)
	v_rcp_f32_e32 v24, v22
	v_rcp_f32_e32 v21, v20
	v_div_scale_f32 v27, s2, v23, v9, v23
	s_delay_alu instid0(TRANS32_DEP_1) | instskip(NEXT) | instid1(VALU_DEP_1)
	v_fma_f32 v17, -v20, v21, 1.0
	v_fmac_f32_e32 v21, v17, v21
	s_delay_alu instid0(TRANS32_DEP_2) | instskip(NEXT) | instid1(VALU_DEP_1)
	v_fma_f32 v17, -v22, v24, 1.0
	v_fmac_f32_e32 v24, v17, v24
	s_delay_alu instid0(VALU_DEP_3) | instskip(SKIP_2) | instid1(VALU_DEP_1)
	v_mul_f32_e32 v26, v25, v21
	ds_load_2addr_stride64_b32 v[16:17], v16 offset0:22 offset1:24
	v_dual_mul_f32 v28, v27, v24 :: v_dual_fma_f32 v19, -v20, v26, v25
	v_dual_fma_f32 v29, -v22, v28, v27 :: v_dual_fmac_f32 v26, v19, v21
	ds_load_2addr_stride64_b32 v[18:19], v18 offset0:22 offset1:24
	v_dual_fmac_f32 v28, v29, v24 :: v_dual_fma_f32 v20, -v20, v26, v25
	s_delay_alu instid0(VALU_DEP_1) | instskip(NEXT) | instid1(VALU_DEP_2)
	v_dual_mov_b32 v25, v8 :: v_dual_fma_f32 v22, -v22, v28, v27
	v_div_fmas_f32 v21, v20, v21, v26
	s_wait_dscnt 0x1
	v_mov_b32_e32 v20, v17
	s_mov_b32 vcc_lo, s2
	s_delay_alu instid0(VALU_DEP_2) | instskip(SKIP_3) | instid1(VALU_DEP_3)
	v_div_fixup_f32 v17, v21, v7, v13
	v_mov_b32_e32 v21, v16
	v_div_fmas_f32 v7, v22, v24, v28
	s_wait_dscnt 0x0
	v_dual_mov_b32 v22, v17 :: v_dual_mov_b32 v24, v19
	s_delay_alu instid0(VALU_DEP_2) | instskip(SKIP_1) | instid1(VALU_DEP_3)
	v_div_fixup_f32 v16, v7, v9, v23
	v_mov_b32_e32 v19, v6
	v_pk_fma_f32 v[8:9], v[22:23], v[20:21], v[14:15] op_sel_hi:[0,1,1] neg_lo:[1,0,0] neg_hi:[1,0,0]
	s_delay_alu instid0(VALU_DEP_1) | instskip(NEXT) | instid1(VALU_DEP_3)
	v_pk_fma_f32 v[6:7], v[16:17], v[24:25], v[8:9] op_sel_hi:[0,1,1] neg_lo:[1,0,0] neg_hi:[1,0,0]
	v_pk_mul_f32 v[8:9], v[16:17], v[18:19] neg_lo:[0,1] neg_hi:[0,1]
.LBB7_8:
	s_or_b32 exec_lo, exec_lo, s3
	s_barrier_signal -1
	s_barrier_wait -1
	s_and_saveexec_b32 s2, s1
	s_cbranch_execz .LBB7_10
; %bb.9:
	ds_store_b32 v5, v9
	ds_store_b32 v11, v7
	;; [unrolled: 1-line block ×4, first 2 shown]
.LBB7_10:
	s_or_b32 exec_lo, exec_lo, s2
	s_wait_dscnt 0x0
	s_barrier_signal -1
	s_barrier_wait -1
	s_and_saveexec_b32 s3, s1
	s_cbranch_execz .LBB7_12
; %bb.11:
	v_sub_nc_u32_e64 v6, v0, 2 clamp
	v_min_u32_e32 v7, 61, v0
	s_delay_alu instid0(VALU_DEP_1)
	v_dual_lshlrev_b32 v13, 2, v6 :: v_dual_lshlrev_b32 v8, 2, v7
	ds_load_b32 v21, v5
	ds_load_2addr_stride64_b32 v[6:7], v13 offset0:20 offset1:21
	s_wait_dscnt 0x0
	v_div_scale_f32 v20, null, v7, v7, v21
	v_div_scale_f32 v26, vcc_lo, v21, v7, v21
	s_delay_alu instid0(VALU_DEP_2) | instskip(SKIP_1) | instid1(TRANS32_DEP_1)
	v_rcp_f32_e32 v22, v20
	v_nop
	v_fma_f32 v16, -v20, v22, 1.0
	s_delay_alu instid0(VALU_DEP_1)
	v_dual_add_nc_u32 v18, 8, v8 :: v_dual_fmac_f32 v22, v16, v22
	ds_load_2addr_stride64_b32 v[8:9], v18 offset0:20 offset1:21
	ds_load_b32 v23, v12
	ds_load_b32 v15, v11
	;; [unrolled: 1-line block ×3, first 2 shown]
	ds_load_2addr_stride64_b32 v[18:19], v18 offset0:22 offset1:24
	s_wait_dscnt 0x3
	v_div_scale_f32 v24, null, v9, v9, v23
	v_div_scale_f32 v28, s2, v23, v9, v23
	s_delay_alu instid0(VALU_DEP_2) | instskip(SKIP_1) | instid1(TRANS32_DEP_1)
	v_rcp_f32_e32 v25, v24
	v_nop
	v_fma_f32 v16, -v24, v25, 1.0
	s_delay_alu instid0(VALU_DEP_1) | instskip(SKIP_2) | instid1(VALU_DEP_1)
	v_dual_mul_f32 v27, v26, v22 :: v_dual_fmac_f32 v25, v16, v25
	ds_load_2addr_stride64_b32 v[16:17], v13 offset0:22 offset1:24
	v_fma_f32 v13, -v20, v27, v26
	v_dual_mul_f32 v29, v28, v25 :: v_dual_fmac_f32 v27, v13, v22
	s_delay_alu instid0(VALU_DEP_1) | instskip(NEXT) | instid1(VALU_DEP_1)
	v_fma_f32 v13, -v24, v29, v28
	v_dual_fma_f32 v20, -v20, v27, v26 :: v_dual_fmac_f32 v29, v13, v25
	s_delay_alu instid0(VALU_DEP_1) | instskip(SKIP_3) | instid1(VALU_DEP_2)
	v_div_fmas_f32 v13, v20, v22, v27
	s_mov_b32 vcc_lo, s2
	s_wait_dscnt 0x0
	v_mov_b32_e32 v20, v17
	v_div_fixup_f32 v17, v13, v7, v21
	v_mov_b32_e32 v21, v16
	v_dual_fma_f32 v22, -v24, v29, v28 :: v_dual_mov_b32 v24, v19
	v_mov_b32_e32 v19, v6
	s_delay_alu instid0(VALU_DEP_2) | instskip(SKIP_1) | instid1(VALU_DEP_2)
	v_div_fmas_f32 v7, v22, v25, v29
	v_dual_mov_b32 v22, v17 :: v_dual_mov_b32 v25, v8
	v_div_fixup_f32 v16, v7, v9, v23
	s_delay_alu instid0(VALU_DEP_2) | instskip(NEXT) | instid1(VALU_DEP_1)
	v_pk_fma_f32 v[8:9], v[22:23], v[20:21], v[14:15] op_sel_hi:[0,1,1] neg_lo:[1,0,0] neg_hi:[1,0,0]
	v_pk_fma_f32 v[6:7], v[16:17], v[24:25], v[8:9] op_sel_hi:[0,1,1] neg_lo:[1,0,0] neg_hi:[1,0,0]
	v_pk_mul_f32 v[8:9], v[16:17], v[18:19] neg_lo:[0,1] neg_hi:[0,1]
.LBB7_12:
	s_or_b32 exec_lo, exec_lo, s3
	s_barrier_signal -1
	s_barrier_wait -1
	s_and_saveexec_b32 s2, s1
	s_cbranch_execz .LBB7_14
; %bb.13:
	ds_store_b32 v5, v9
	ds_store_b32 v11, v7
	;; [unrolled: 1-line block ×4, first 2 shown]
.LBB7_14:
	s_or_b32 exec_lo, exec_lo, s2
	s_wait_dscnt 0x0
	s_barrier_signal -1
	s_barrier_wait -1
	s_and_saveexec_b32 s3, s1
	s_cbranch_execz .LBB7_16
; %bb.15:
	v_sub_nc_u32_e64 v6, v0, 4 clamp
	v_min_u32_e32 v7, 59, v0
	s_delay_alu instid0(VALU_DEP_1)
	v_dual_lshlrev_b32 v13, 2, v6 :: v_dual_lshlrev_b32 v8, 2, v7
	ds_load_b32 v21, v5
	ds_load_2addr_stride64_b32 v[6:7], v13 offset0:20 offset1:21
	s_wait_dscnt 0x0
	v_div_scale_f32 v20, null, v7, v7, v21
	v_div_scale_f32 v26, vcc_lo, v21, v7, v21
	s_delay_alu instid0(VALU_DEP_2) | instskip(SKIP_1) | instid1(TRANS32_DEP_1)
	v_rcp_f32_e32 v22, v20
	v_nop
	v_fma_f32 v16, -v20, v22, 1.0
	s_delay_alu instid0(VALU_DEP_1)
	v_dual_add_nc_u32 v18, 16, v8 :: v_dual_fmac_f32 v22, v16, v22
	ds_load_2addr_stride64_b32 v[8:9], v18 offset0:20 offset1:21
	ds_load_b32 v23, v12
	ds_load_b32 v15, v11
	;; [unrolled: 1-line block ×3, first 2 shown]
	ds_load_2addr_stride64_b32 v[18:19], v18 offset0:22 offset1:24
	s_wait_dscnt 0x3
	v_div_scale_f32 v24, null, v9, v9, v23
	v_div_scale_f32 v28, s2, v23, v9, v23
	s_delay_alu instid0(VALU_DEP_2) | instskip(SKIP_1) | instid1(TRANS32_DEP_1)
	v_rcp_f32_e32 v25, v24
	v_nop
	v_fma_f32 v16, -v24, v25, 1.0
	s_delay_alu instid0(VALU_DEP_1) | instskip(SKIP_2) | instid1(VALU_DEP_1)
	v_dual_mul_f32 v27, v26, v22 :: v_dual_fmac_f32 v25, v16, v25
	ds_load_2addr_stride64_b32 v[16:17], v13 offset0:22 offset1:24
	v_fma_f32 v13, -v20, v27, v26
	v_dual_mul_f32 v29, v28, v25 :: v_dual_fmac_f32 v27, v13, v22
	s_delay_alu instid0(VALU_DEP_1) | instskip(NEXT) | instid1(VALU_DEP_1)
	v_fma_f32 v13, -v24, v29, v28
	v_dual_fma_f32 v20, -v20, v27, v26 :: v_dual_fmac_f32 v29, v13, v25
	s_delay_alu instid0(VALU_DEP_1) | instskip(SKIP_3) | instid1(VALU_DEP_2)
	v_div_fmas_f32 v13, v20, v22, v27
	s_mov_b32 vcc_lo, s2
	s_wait_dscnt 0x0
	v_mov_b32_e32 v20, v17
	v_div_fixup_f32 v17, v13, v7, v21
	v_mov_b32_e32 v21, v16
	v_dual_fma_f32 v22, -v24, v29, v28 :: v_dual_mov_b32 v24, v19
	v_mov_b32_e32 v19, v6
	s_delay_alu instid0(VALU_DEP_2) | instskip(SKIP_1) | instid1(VALU_DEP_2)
	v_div_fmas_f32 v7, v22, v25, v29
	v_dual_mov_b32 v22, v17 :: v_dual_mov_b32 v25, v8
	v_div_fixup_f32 v16, v7, v9, v23
	s_delay_alu instid0(VALU_DEP_2) | instskip(NEXT) | instid1(VALU_DEP_1)
	v_pk_fma_f32 v[8:9], v[22:23], v[20:21], v[14:15] op_sel_hi:[0,1,1] neg_lo:[1,0,0] neg_hi:[1,0,0]
	v_pk_fma_f32 v[6:7], v[16:17], v[24:25], v[8:9] op_sel_hi:[0,1,1] neg_lo:[1,0,0] neg_hi:[1,0,0]
	v_pk_mul_f32 v[8:9], v[16:17], v[18:19] neg_lo:[0,1] neg_hi:[0,1]
.LBB7_16:
	s_or_b32 exec_lo, exec_lo, s3
	s_barrier_signal -1
	s_barrier_wait -1
	s_and_saveexec_b32 s2, s1
	s_cbranch_execz .LBB7_18
; %bb.17:
	ds_store_b32 v5, v9
	ds_store_b32 v11, v7
	;; [unrolled: 1-line block ×4, first 2 shown]
.LBB7_18:
	s_or_b32 exec_lo, exec_lo, s2
	s_wait_dscnt 0x0
	s_barrier_signal -1
	s_barrier_wait -1
	s_and_saveexec_b32 s3, s1
	s_cbranch_execz .LBB7_20
; %bb.19:
	v_sub_nc_u32_e64 v6, v0, 8 clamp
	v_min_u32_e32 v7, 55, v0
	s_delay_alu instid0(VALU_DEP_1)
	v_dual_lshlrev_b32 v13, 2, v6 :: v_dual_lshlrev_b32 v8, 2, v7
	ds_load_b32 v21, v5
	ds_load_2addr_stride64_b32 v[6:7], v13 offset0:20 offset1:21
	s_wait_dscnt 0x0
	v_div_scale_f32 v20, null, v7, v7, v21
	v_div_scale_f32 v26, vcc_lo, v21, v7, v21
	s_delay_alu instid0(VALU_DEP_2) | instskip(SKIP_1) | instid1(TRANS32_DEP_1)
	v_rcp_f32_e32 v22, v20
	v_nop
	v_fma_f32 v16, -v20, v22, 1.0
	s_delay_alu instid0(VALU_DEP_1)
	v_dual_add_nc_u32 v18, 32, v8 :: v_dual_fmac_f32 v22, v16, v22
	ds_load_2addr_stride64_b32 v[8:9], v18 offset0:20 offset1:21
	ds_load_b32 v23, v12
	ds_load_b32 v15, v11
	;; [unrolled: 1-line block ×3, first 2 shown]
	ds_load_2addr_stride64_b32 v[18:19], v18 offset0:22 offset1:24
	s_wait_dscnt 0x3
	v_div_scale_f32 v24, null, v9, v9, v23
	v_div_scale_f32 v28, s2, v23, v9, v23
	s_delay_alu instid0(VALU_DEP_2) | instskip(SKIP_1) | instid1(TRANS32_DEP_1)
	v_rcp_f32_e32 v25, v24
	v_nop
	v_fma_f32 v16, -v24, v25, 1.0
	s_delay_alu instid0(VALU_DEP_1) | instskip(SKIP_2) | instid1(VALU_DEP_1)
	v_dual_mul_f32 v27, v26, v22 :: v_dual_fmac_f32 v25, v16, v25
	ds_load_2addr_stride64_b32 v[16:17], v13 offset0:22 offset1:24
	v_fma_f32 v13, -v20, v27, v26
	v_dual_mul_f32 v29, v28, v25 :: v_dual_fmac_f32 v27, v13, v22
	s_delay_alu instid0(VALU_DEP_1) | instskip(NEXT) | instid1(VALU_DEP_1)
	v_fma_f32 v13, -v24, v29, v28
	v_dual_fma_f32 v20, -v20, v27, v26 :: v_dual_fmac_f32 v29, v13, v25
	s_delay_alu instid0(VALU_DEP_1) | instskip(SKIP_3) | instid1(VALU_DEP_2)
	v_div_fmas_f32 v13, v20, v22, v27
	s_mov_b32 vcc_lo, s2
	s_wait_dscnt 0x0
	v_mov_b32_e32 v20, v17
	v_div_fixup_f32 v17, v13, v7, v21
	v_mov_b32_e32 v21, v16
	v_dual_fma_f32 v22, -v24, v29, v28 :: v_dual_mov_b32 v24, v19
	v_mov_b32_e32 v19, v6
	s_delay_alu instid0(VALU_DEP_2) | instskip(SKIP_1) | instid1(VALU_DEP_2)
	v_div_fmas_f32 v7, v22, v25, v29
	v_dual_mov_b32 v22, v17 :: v_dual_mov_b32 v25, v8
	v_div_fixup_f32 v16, v7, v9, v23
	s_delay_alu instid0(VALU_DEP_2) | instskip(NEXT) | instid1(VALU_DEP_1)
	v_pk_fma_f32 v[8:9], v[22:23], v[20:21], v[14:15] op_sel_hi:[0,1,1] neg_lo:[1,0,0] neg_hi:[1,0,0]
	v_pk_fma_f32 v[6:7], v[16:17], v[24:25], v[8:9] op_sel_hi:[0,1,1] neg_lo:[1,0,0] neg_hi:[1,0,0]
	v_pk_mul_f32 v[8:9], v[16:17], v[18:19] neg_lo:[0,1] neg_hi:[0,1]
.LBB7_20:
	s_or_b32 exec_lo, exec_lo, s3
	s_barrier_signal -1
	s_barrier_wait -1
	s_and_saveexec_b32 s2, s1
	s_cbranch_execz .LBB7_22
; %bb.21:
	ds_store_b32 v5, v9
	ds_store_b32 v11, v7
	;; [unrolled: 1-line block ×4, first 2 shown]
.LBB7_22:
	s_or_b32 exec_lo, exec_lo, s2
	s_wait_dscnt 0x0
	s_barrier_signal -1
	s_barrier_wait -1
	s_and_saveexec_b32 s3, s1
	s_cbranch_execz .LBB7_24
; %bb.23:
	v_sub_nc_u32_e64 v6, v0, 16 clamp
	v_min_u32_e32 v7, 47, v0
	s_delay_alu instid0(VALU_DEP_1)
	v_dual_lshlrev_b32 v13, 2, v6 :: v_dual_lshlrev_b32 v8, 2, v7
	ds_load_b32 v21, v5
	ds_load_2addr_stride64_b32 v[6:7], v13 offset0:20 offset1:21
	s_wait_dscnt 0x0
	v_div_scale_f32 v20, null, v7, v7, v21
	v_div_scale_f32 v26, vcc_lo, v21, v7, v21
	s_delay_alu instid0(VALU_DEP_2) | instskip(SKIP_1) | instid1(TRANS32_DEP_1)
	v_rcp_f32_e32 v22, v20
	v_nop
	v_fma_f32 v16, -v20, v22, 1.0
	s_delay_alu instid0(VALU_DEP_1)
	v_dual_add_nc_u32 v18, 64, v8 :: v_dual_fmac_f32 v22, v16, v22
	ds_load_2addr_stride64_b32 v[8:9], v18 offset0:20 offset1:21
	ds_load_b32 v23, v12
	ds_load_b32 v15, v11
	;; [unrolled: 1-line block ×3, first 2 shown]
	ds_load_2addr_stride64_b32 v[18:19], v18 offset0:22 offset1:24
	s_wait_dscnt 0x3
	v_div_scale_f32 v24, null, v9, v9, v23
	v_div_scale_f32 v28, s2, v23, v9, v23
	s_delay_alu instid0(VALU_DEP_2) | instskip(SKIP_1) | instid1(TRANS32_DEP_1)
	v_rcp_f32_e32 v25, v24
	v_nop
	v_fma_f32 v16, -v24, v25, 1.0
	s_delay_alu instid0(VALU_DEP_1) | instskip(SKIP_2) | instid1(VALU_DEP_1)
	v_dual_mul_f32 v27, v26, v22 :: v_dual_fmac_f32 v25, v16, v25
	ds_load_2addr_stride64_b32 v[16:17], v13 offset0:22 offset1:24
	v_fma_f32 v13, -v20, v27, v26
	v_dual_mul_f32 v29, v28, v25 :: v_dual_fmac_f32 v27, v13, v22
	s_delay_alu instid0(VALU_DEP_1) | instskip(NEXT) | instid1(VALU_DEP_1)
	v_fma_f32 v13, -v24, v29, v28
	v_dual_fma_f32 v20, -v20, v27, v26 :: v_dual_fmac_f32 v29, v13, v25
	s_delay_alu instid0(VALU_DEP_1) | instskip(SKIP_3) | instid1(VALU_DEP_2)
	v_div_fmas_f32 v13, v20, v22, v27
	s_mov_b32 vcc_lo, s2
	s_wait_dscnt 0x0
	v_mov_b32_e32 v20, v17
	v_div_fixup_f32 v17, v13, v7, v21
	v_mov_b32_e32 v21, v16
	v_dual_fma_f32 v22, -v24, v29, v28 :: v_dual_mov_b32 v24, v19
	v_mov_b32_e32 v19, v6
	s_delay_alu instid0(VALU_DEP_2) | instskip(SKIP_1) | instid1(VALU_DEP_2)
	v_div_fmas_f32 v7, v22, v25, v29
	v_dual_mov_b32 v22, v17 :: v_dual_mov_b32 v25, v8
	v_div_fixup_f32 v16, v7, v9, v23
	s_delay_alu instid0(VALU_DEP_2) | instskip(NEXT) | instid1(VALU_DEP_1)
	v_pk_fma_f32 v[8:9], v[22:23], v[20:21], v[14:15] op_sel_hi:[0,1,1] neg_lo:[1,0,0] neg_hi:[1,0,0]
	v_pk_fma_f32 v[6:7], v[16:17], v[24:25], v[8:9] op_sel_hi:[0,1,1] neg_lo:[1,0,0] neg_hi:[1,0,0]
	v_pk_mul_f32 v[8:9], v[16:17], v[18:19] neg_lo:[0,1] neg_hi:[0,1]
.LBB7_24:
	s_or_b32 exec_lo, exec_lo, s3
	s_barrier_signal -1
	s_barrier_wait -1
	s_and_saveexec_b32 s2, s1
	s_cbranch_execz .LBB7_26
; %bb.25:
	ds_store_b32 v5, v9
	ds_store_b32 v11, v7
	;; [unrolled: 1-line block ×4, first 2 shown]
.LBB7_26:
	s_or_b32 exec_lo, exec_lo, s2
	s_delay_alu instid0(SALU_CYCLE_1)
	s_mov_b32 s2, exec_lo
	s_wait_dscnt 0x0
	s_barrier_signal -1
	s_barrier_wait -1
	v_cmpx_gt_u32_e32 32, v0
	s_cbranch_execz .LBB7_28
; %bb.27:
	ds_load_b32 v12, v12
	ds_load_b32 v5, v5 offset:128
	ds_load_2addr_b32 v[6:7], v11 offset1:32
	s_wait_dscnt 0x1
	v_mul_f32_e32 v8, v12, v5
	s_wait_dscnt 0x0
	s_delay_alu instid0(VALU_DEP_1) | instskip(NEXT) | instid1(VALU_DEP_1)
	v_fma_f32 v11, v7, v6, -v8
	v_div_scale_f32 v13, null, v11, v11, 1.0
	v_div_scale_f32 v15, vcc_lo, 1.0, v11, 1.0
	s_delay_alu instid0(VALU_DEP_2) | instskip(SKIP_1) | instid1(TRANS32_DEP_1)
	v_rcp_f32_e32 v14, v13
	v_nop
	v_fma_f32 v8, -v13, v14, 1.0
	s_delay_alu instid0(VALU_DEP_1) | instskip(SKIP_2) | instid1(VALU_DEP_1)
	v_fmac_f32_e32 v14, v8, v14
	ds_load_2addr_b32 v[8:9], v3 offset1:32
	v_mul_f32_e32 v3, v15, v14
	v_fma_f32 v16, -v13, v3, v15
	s_wait_dscnt 0x0
	s_delay_alu instid0(VALU_DEP_1) | instskip(NEXT) | instid1(VALU_DEP_1)
	v_dual_fmac_f32 v3, v16, v14 :: v_dual_mul_f32 v5, v5, v8
	v_dual_fma_f32 v13, -v13, v3, v15 :: v_dual_mul_f32 v12, v12, v9
	s_delay_alu instid0(VALU_DEP_2) | instskip(NEXT) | instid1(VALU_DEP_2)
	v_fma_f32 v5, v6, v9, -v5
	v_div_fmas_f32 v3, v13, v14, v3
	s_delay_alu instid0(VALU_DEP_3) | instskip(NEXT) | instid1(VALU_DEP_2)
	v_fma_f32 v7, v7, v8, -v12
	v_div_fixup_f32 v3, v3, v11, 1.0
	s_delay_alu instid0(VALU_DEP_1)
	v_dual_mul_f32 v6, v3, v7 :: v_dual_mul_f32 v3, v3, v5
	v_add_nc_u32_e32 v5, 0x1400, v1
	ds_store_2addr_b32 v5, v6, v3 offset0:192 offset1:224
.LBB7_28:
	s_or_b32 exec_lo, exec_lo, s2
	v_dual_ashrrev_i32 v3, 31, v2 :: v_dual_mov_b32 v5, 0
	s_wait_dscnt 0x0
	s_barrier_signal -1
	s_barrier_wait -1
	s_and_saveexec_b32 s2, s1
	s_cbranch_execz .LBB7_30
; %bb.29:
	ds_load_b32 v6, v1 offset:5888
	s_wait_dscnt 0x0
	ds_store_b32 v10, v6 offset:3068
.LBB7_30:
	s_or_b32 exec_lo, exec_lo, s2
	s_wait_dscnt 0x0
	s_barrier_signal -1
	s_barrier_wait -1
	s_and_saveexec_b32 s2, s1
	s_cbranch_execz .LBB7_34
; %bb.31:
	v_lshlrev_b32_e32 v6, 4, v0
	s_mov_b32 s1, exec_lo
	ds_load_b32 v7, v6 offset:4100
	v_lshlrev_b32_e32 v6, 2, v1
	v_cmpx_ne_u32_e32 0, v0
	s_cbranch_execz .LBB7_33
; %bb.32:
	ds_load_b32 v8, v6 offset:4
	ds_load_b32 v9, v6 offset:3068
	s_wait_dscnt 0x0
	v_fma_f32 v7, -v8, v9, v7
.LBB7_33:
	s_or_b32 exec_lo, exec_lo, s1
	s_delay_alu instid0(VALU_DEP_2) | instskip(SKIP_4) | instid1(VALU_DEP_1)
	v_add_nc_u32_e32 v8, 4, v6
	ds_load_b32 v10, v6 offset:3084
	ds_load_2addr_stride64_b32 v[8:9], v8 offset0:4 offset1:8
	s_wait_dscnt 0x0
	v_fma_f32 v7, -v9, v10, v7
	v_div_scale_f32 v9, null, v8, v8, v7
	s_delay_alu instid0(VALU_DEP_1) | instskip(SKIP_1) | instid1(TRANS32_DEP_1)
	v_rcp_f32_e32 v10, v9
	v_nop
	v_fma_f32 v11, -v9, v10, 1.0
	s_delay_alu instid0(VALU_DEP_1) | instskip(SKIP_1) | instid1(VALU_DEP_1)
	v_fmac_f32_e32 v10, v11, v10
	v_div_scale_f32 v11, vcc_lo, v7, v8, v7
	v_mul_f32_e32 v12, v11, v10
	s_delay_alu instid0(VALU_DEP_1) | instskip(NEXT) | instid1(VALU_DEP_1)
	v_fma_f32 v13, -v9, v12, v11
	v_fmac_f32_e32 v12, v13, v10
	s_delay_alu instid0(VALU_DEP_1) | instskip(NEXT) | instid1(VALU_DEP_1)
	v_fma_f32 v9, -v9, v12, v11
	v_div_fmas_f32 v9, v9, v10, v12
	s_delay_alu instid0(VALU_DEP_1)
	v_div_fixup_f32 v7, v9, v8, v7
	ds_store_b32 v6, v7 offset:3076
.LBB7_34:
	s_or_b32 exec_lo, exec_lo, s2
	v_lshl_add_u64 v[2:3], v[2:3], 2, s[10:11]
	v_lshl_add_u64 v[4:5], v[4:5], 2, s[10:11]
	s_wait_dscnt 0x0
	s_barrier_signal -1
	s_barrier_wait -1
	s_and_saveexec_b32 s1, s0
	s_cbranch_execz .LBB7_38
; %bb.35:
	v_dual_lshlrev_b32 v6, 3, v0 :: v_dual_lshlrev_b32 v7, 1, v0
	v_cmp_ne_u32_e32 vcc_lo, 0, v0
	ds_load_b32 v6, v6 offset:4096
	v_lshlrev_b32_e32 v0, 2, v7
	s_and_saveexec_b32 s0, vcc_lo
	s_cbranch_execz .LBB7_37
; %bb.36:
	ds_load_b32 v7, v0
	ds_load_b32 v8, v0 offset:3068
	s_wait_dscnt 0x0
	v_fma_f32 v6, -v7, v8, v6
.LBB7_37:
	s_or_b32 exec_lo, exec_lo, s0
	ds_load_2addr_stride64_b32 v[8:9], v0 offset0:4 offset1:8
	ds_load_b32 v7, v0 offset:3076
	s_wait_dscnt 0x0
	v_fma_f32 v6, -v9, v7, v6
	s_delay_alu instid0(VALU_DEP_1) | instskip(NEXT) | instid1(VALU_DEP_1)
	v_div_scale_f32 v7, null, v8, v8, v6
	v_rcp_f32_e32 v9, v7
	v_nop
	s_delay_alu instid0(TRANS32_DEP_1) | instskip(NEXT) | instid1(VALU_DEP_1)
	v_fma_f32 v10, -v7, v9, 1.0
	v_fmac_f32_e32 v9, v10, v9
	v_div_scale_f32 v10, vcc_lo, v6, v8, v6
	s_delay_alu instid0(VALU_DEP_1) | instskip(NEXT) | instid1(VALU_DEP_1)
	v_mul_f32_e32 v11, v10, v9
	v_fma_f32 v12, -v7, v11, v10
	s_delay_alu instid0(VALU_DEP_1) | instskip(NEXT) | instid1(VALU_DEP_1)
	v_fmac_f32_e32 v11, v12, v9
	v_fma_f32 v7, -v7, v11, v10
	s_delay_alu instid0(VALU_DEP_1) | instskip(NEXT) | instid1(VALU_DEP_1)
	v_div_fmas_f32 v7, v7, v9, v11
	v_div_fixup_f32 v6, v7, v8, v6
	ds_store_b32 v0, v6 offset:3072
.LBB7_38:
	s_or_b32 exec_lo, exec_lo, s1
	s_wait_dscnt 0x0
	s_barrier_signal -1
	s_barrier_wait -1
	ds_load_2addr_stride64_b32 v[0:1], v1 offset0:12 offset1:14
	s_wait_dscnt 0x0
	s_clause 0x1
	global_store_b32 v[2:3], v0, off
	global_store_b32 v[4:5], v1, off
	s_endpgm
	.section	.rodata,"a",@progbits
	.p2align	6, 0x0
	.amdhsa_kernel _ZN9rocsparseL51gtsv_nopivot_strided_batch_crpcr_pow2_shared_kernelILj128ELj64EfEEviiiPKT1_S3_S3_PS1_
		.amdhsa_group_segment_fixed_size 6400
		.amdhsa_private_segment_fixed_size 0
		.amdhsa_kernarg_size 48
		.amdhsa_user_sgpr_count 2
		.amdhsa_user_sgpr_dispatch_ptr 0
		.amdhsa_user_sgpr_queue_ptr 0
		.amdhsa_user_sgpr_kernarg_segment_ptr 1
		.amdhsa_user_sgpr_dispatch_id 0
		.amdhsa_user_sgpr_kernarg_preload_length 0
		.amdhsa_user_sgpr_kernarg_preload_offset 0
		.amdhsa_user_sgpr_private_segment_size 0
		.amdhsa_wavefront_size32 1
		.amdhsa_uses_dynamic_stack 0
		.amdhsa_enable_private_segment 0
		.amdhsa_system_sgpr_workgroup_id_x 1
		.amdhsa_system_sgpr_workgroup_id_y 0
		.amdhsa_system_sgpr_workgroup_id_z 0
		.amdhsa_system_sgpr_workgroup_info 0
		.amdhsa_system_vgpr_workitem_id 0
		.amdhsa_next_free_vgpr 30
		.amdhsa_next_free_sgpr 13
		.amdhsa_named_barrier_count 0
		.amdhsa_reserve_vcc 1
		.amdhsa_float_round_mode_32 0
		.amdhsa_float_round_mode_16_64 0
		.amdhsa_float_denorm_mode_32 3
		.amdhsa_float_denorm_mode_16_64 3
		.amdhsa_fp16_overflow 0
		.amdhsa_memory_ordered 1
		.amdhsa_forward_progress 1
		.amdhsa_inst_pref_size 33
		.amdhsa_round_robin_scheduling 0
		.amdhsa_exception_fp_ieee_invalid_op 0
		.amdhsa_exception_fp_denorm_src 0
		.amdhsa_exception_fp_ieee_div_zero 0
		.amdhsa_exception_fp_ieee_overflow 0
		.amdhsa_exception_fp_ieee_underflow 0
		.amdhsa_exception_fp_ieee_inexact 0
		.amdhsa_exception_int_div_zero 0
	.end_amdhsa_kernel
	.section	.text._ZN9rocsparseL51gtsv_nopivot_strided_batch_crpcr_pow2_shared_kernelILj128ELj64EfEEviiiPKT1_S3_S3_PS1_,"axG",@progbits,_ZN9rocsparseL51gtsv_nopivot_strided_batch_crpcr_pow2_shared_kernelILj128ELj64EfEEviiiPKT1_S3_S3_PS1_,comdat
.Lfunc_end7:
	.size	_ZN9rocsparseL51gtsv_nopivot_strided_batch_crpcr_pow2_shared_kernelILj128ELj64EfEEviiiPKT1_S3_S3_PS1_, .Lfunc_end7-_ZN9rocsparseL51gtsv_nopivot_strided_batch_crpcr_pow2_shared_kernelILj128ELj64EfEEviiiPKT1_S3_S3_PS1_
                                        ; -- End function
	.set _ZN9rocsparseL51gtsv_nopivot_strided_batch_crpcr_pow2_shared_kernelILj128ELj64EfEEviiiPKT1_S3_S3_PS1_.num_vgpr, 30
	.set _ZN9rocsparseL51gtsv_nopivot_strided_batch_crpcr_pow2_shared_kernelILj128ELj64EfEEviiiPKT1_S3_S3_PS1_.num_agpr, 0
	.set _ZN9rocsparseL51gtsv_nopivot_strided_batch_crpcr_pow2_shared_kernelILj128ELj64EfEEviiiPKT1_S3_S3_PS1_.numbered_sgpr, 13
	.set _ZN9rocsparseL51gtsv_nopivot_strided_batch_crpcr_pow2_shared_kernelILj128ELj64EfEEviiiPKT1_S3_S3_PS1_.num_named_barrier, 0
	.set _ZN9rocsparseL51gtsv_nopivot_strided_batch_crpcr_pow2_shared_kernelILj128ELj64EfEEviiiPKT1_S3_S3_PS1_.private_seg_size, 0
	.set _ZN9rocsparseL51gtsv_nopivot_strided_batch_crpcr_pow2_shared_kernelILj128ELj64EfEEviiiPKT1_S3_S3_PS1_.uses_vcc, 1
	.set _ZN9rocsparseL51gtsv_nopivot_strided_batch_crpcr_pow2_shared_kernelILj128ELj64EfEEviiiPKT1_S3_S3_PS1_.uses_flat_scratch, 0
	.set _ZN9rocsparseL51gtsv_nopivot_strided_batch_crpcr_pow2_shared_kernelILj128ELj64EfEEviiiPKT1_S3_S3_PS1_.has_dyn_sized_stack, 0
	.set _ZN9rocsparseL51gtsv_nopivot_strided_batch_crpcr_pow2_shared_kernelILj128ELj64EfEEviiiPKT1_S3_S3_PS1_.has_recursion, 0
	.set _ZN9rocsparseL51gtsv_nopivot_strided_batch_crpcr_pow2_shared_kernelILj128ELj64EfEEviiiPKT1_S3_S3_PS1_.has_indirect_call, 0
	.section	.AMDGPU.csdata,"",@progbits
; Kernel info:
; codeLenInByte = 4160
; TotalNumSgprs: 15
; NumVgprs: 30
; ScratchSize: 0
; MemoryBound: 0
; FloatMode: 240
; IeeeMode: 1
; LDSByteSize: 6400 bytes/workgroup (compile time only)
; SGPRBlocks: 0
; VGPRBlocks: 1
; NumSGPRsForWavesPerEU: 15
; NumVGPRsForWavesPerEU: 30
; NamedBarCnt: 0
; Occupancy: 16
; WaveLimiterHint : 0
; COMPUTE_PGM_RSRC2:SCRATCH_EN: 0
; COMPUTE_PGM_RSRC2:USER_SGPR: 2
; COMPUTE_PGM_RSRC2:TRAP_HANDLER: 0
; COMPUTE_PGM_RSRC2:TGID_X_EN: 1
; COMPUTE_PGM_RSRC2:TGID_Y_EN: 0
; COMPUTE_PGM_RSRC2:TGID_Z_EN: 0
; COMPUTE_PGM_RSRC2:TIDIG_COMP_CNT: 0
	.section	.text._ZN9rocsparseL51gtsv_nopivot_strided_batch_crpcr_pow2_shared_kernelILj256ELj64EfEEviiiPKT1_S3_S3_PS1_,"axG",@progbits,_ZN9rocsparseL51gtsv_nopivot_strided_batch_crpcr_pow2_shared_kernelILj256ELj64EfEEviiiPKT1_S3_S3_PS1_,comdat
	.globl	_ZN9rocsparseL51gtsv_nopivot_strided_batch_crpcr_pow2_shared_kernelILj256ELj64EfEEviiiPKT1_S3_S3_PS1_ ; -- Begin function _ZN9rocsparseL51gtsv_nopivot_strided_batch_crpcr_pow2_shared_kernelILj256ELj64EfEEviiiPKT1_S3_S3_PS1_
	.p2align	8
	.type	_ZN9rocsparseL51gtsv_nopivot_strided_batch_crpcr_pow2_shared_kernelILj256ELj64EfEEviiiPKT1_S3_S3_PS1_,@function
_ZN9rocsparseL51gtsv_nopivot_strided_batch_crpcr_pow2_shared_kernelILj256ELj64EfEEviiiPKT1_S3_S3_PS1_: ; @_ZN9rocsparseL51gtsv_nopivot_strided_batch_crpcr_pow2_shared_kernelILj256ELj64EfEEviiiPKT1_S3_S3_PS1_
; %bb.0:
	s_load_b32 s2, s[0:1], 0x8
	s_bfe_u32 s3, ttmp6, 0x4000c
	s_load_b256 s[4:11], s[0:1], 0x10
	s_add_co_i32 s3, s3, 1
	s_and_b32 s12, ttmp6, 15
	s_wait_xcnt 0x0
	s_mul_i32 s0, ttmp9, s3
	s_getreg_b32 s1, hwreg(HW_REG_IB_STS2, 6, 4)
	s_add_co_i32 s12, s12, s0
	s_cmp_eq_u32 s1, 0
	v_dual_lshlrev_b32 v1, 2, v0 :: v_dual_add_nc_u32 v13, 1, v0
	s_cselect_b32 s0, ttmp9, s12
	s_wait_kmcnt 0x0
	v_mad_u32 v2, s2, s0, v0
	v_cmp_gt_u32_e64 s0, 0x100, v0
	s_delay_alu instid0(VALU_DEP_2)
	v_add_nc_u32_e32 v4, 0x100, v2
	s_clause 0x3
	global_load_b32 v3, v2, s[4:5] scale_offset
	global_load_b32 v5, v2, s[6:7] scale_offset
	;; [unrolled: 1-line block ×4, first 2 shown]
	s_clause 0x3
	global_load_b32 v8, v4, s[4:5] scale_offset
	global_load_b32 v9, v4, s[6:7] scale_offset
	;; [unrolled: 1-line block ×4, first 2 shown]
	s_wait_loadcnt 0x3
	ds_store_2addr_stride64_b32 v1, v3, v8 offset1:4
	s_wait_loadcnt 0x2
	ds_store_2addr_stride64_b32 v1, v5, v9 offset0:8 offset1:12
	s_wait_loadcnt 0x1
	ds_store_2addr_stride64_b32 v1, v6, v10 offset0:16 offset1:20
	;; [unrolled: 2-line block ×3, first 2 shown]
	s_wait_dscnt 0x0
	s_barrier_signal -1
	s_barrier_wait -1
	s_and_saveexec_b32 s2, s0
	s_cbranch_execz .LBB8_2
; %bb.1:
	v_dual_lshlrev_b32 v3, 1, v13 :: v_dual_lshlrev_b32 v5, 3, v13
	s_delay_alu instid0(VALU_DEP_1) | instskip(NEXT) | instid1(VALU_DEP_2)
	v_min_u32_e32 v3, 0x1ff, v3
	v_add_nc_u32_e32 v6, 0x1f8, v5
	s_delay_alu instid0(VALU_DEP_2)
	v_dual_add_nc_u32 v12, -8, v5 :: v_dual_lshlrev_b32 v3, 2, v3
	ds_load_2addr_stride64_b64 v[6:9], v6 offset0:3 offset1:7
	ds_load_2addr_stride64_b32 v[10:11], v3 offset1:8
	ds_load_b64 v[14:15], v12
	ds_load_b64 v[16:17], v5 offset:8184
	s_wait_dscnt 0x2
	v_div_scale_f32 v12, null, v11, v11, v9
	s_wait_dscnt 0x1
	v_div_scale_f32 v20, null, v6, v6, v15
	v_div_scale_f32 v23, vcc_lo, v9, v11, v9
	s_delay_alu instid0(VALU_DEP_3) | instskip(NEXT) | instid1(VALU_DEP_2)
	v_rcp_f32_e32 v21, v12
	v_rcp_f32_e32 v22, v20
	v_div_scale_f32 v24, s1, v15, v6, v15
	s_delay_alu instid0(TRANS32_DEP_2) | instskip(NEXT) | instid1(TRANS32_DEP_1)
	v_fma_f32 v18, -v12, v21, 1.0
	v_fma_f32 v19, -v20, v22, 1.0
	s_delay_alu instid0(VALU_DEP_1) | instskip(SKIP_2) | instid1(VALU_DEP_1)
	v_dual_fmac_f32 v21, v18, v21 :: v_dual_fmac_f32 v22, v19, v22
	ds_load_2addr_stride64_b32 v[18:19], v3 offset0:16 offset1:32
	v_dual_mul_f32 v25, v23, v21 :: v_dual_mul_f32 v26, v24, v22
	v_fma_f32 v3, -v20, v26, v24
	s_delay_alu instid0(VALU_DEP_1) | instskip(NEXT) | instid1(VALU_DEP_1)
	v_dual_fma_f32 v27, -v12, v25, v23 :: v_dual_fmac_f32 v26, v3, v22
	v_fmac_f32_e32 v25, v27, v21
	s_delay_alu instid0(VALU_DEP_1) | instskip(NEXT) | instid1(VALU_DEP_3)
	v_fma_f32 v3, -v12, v25, v23
	v_fma_f32 v12, -v20, v26, v24
	s_wait_dscnt 0x1
	v_mov_b32_e32 v20, v16
	s_delay_alu instid0(VALU_DEP_3)
	v_div_fmas_f32 v3, v3, v21, v25
	s_mov_b32 vcc_lo, s1
	s_wait_dscnt 0x0
	v_mov_b32_e32 v21, v19
	v_div_fmas_f32 v12, v12, v22, v26
	v_div_fixup_f32 v23, v3, v11, v9
	v_mov_b32_e32 v9, v10
	s_delay_alu instid0(VALU_DEP_3) | instskip(SKIP_1) | instid1(VALU_DEP_2)
	v_div_fixup_f32 v22, v12, v6, v15
	v_add_nc_u32_e32 v6, -4, v5
	v_pk_mul_f32 v[10:11], v[22:23], v[20:21]
	s_delay_alu instid0(VALU_DEP_4) | instskip(NEXT) | instid1(VALU_DEP_1)
	v_pk_mul_f32 v[8:9], v[22:23], v[8:9]
	v_dual_sub_f32 v3, v17, v10 :: v_dual_sub_f32 v7, v7, v8
	v_add_nc_u32_e32 v8, 0xfc, v5
	v_mul_f32_e64 v10, v23, -v18
	s_delay_alu instid0(VALU_DEP_3) | instskip(NEXT) | instid1(VALU_DEP_4)
	v_dual_sub_f32 v3, v3, v11 :: v_dual_mul_f32 v11, v22, -v14
	v_sub_f32_e32 v7, v7, v9
	ds_store_b32 v5, v3 offset:8188
	ds_store_b32 v6, v11
	ds_store_2addr_stride64_b32 v8, v7, v10 offset0:7 offset1:15
.LBB8_2:
	s_or_b32 exec_lo, exec_lo, s2
	v_cmp_gt_u32_e64 s1, 0x80, v0
	s_wait_dscnt 0x0
	s_barrier_signal -1
	s_barrier_wait -1
	s_and_saveexec_b32 s3, s1
	s_cbranch_execz .LBB8_4
; %bb.3:
	v_lshl_or_b32 v3, v13, 2, 1
	s_delay_alu instid0(VALU_DEP_1) | instskip(NEXT) | instid1(VALU_DEP_1)
	v_min_u32_e32 v3, 0x1ff, v3
	v_dual_lshlrev_b32 v5, 4, v13 :: v_dual_lshlrev_b32 v3, 2, v3
	s_delay_alu instid0(VALU_DEP_1)
	v_dual_add_nc_u32 v12, -4, v5 :: v_dual_add_nc_u32 v14, -12, v5
	v_add_nc_u32_e32 v6, 0x400, v5
	v_add_nc_u32_e32 v8, 0xc00, v5
	ds_load_b32 v20, v12
	ds_load_2addr_b32 v[6:7], v6 offset0:253 offset1:255
	ds_load_2addr_b32 v[8:9], v8 offset0:253 offset1:255
	ds_load_2addr_stride64_b32 v[10:11], v3 offset1:8
	ds_load_b32 v22, v14
	ds_load_2addr_stride64_b32 v[16:17], v3 offset0:16 offset1:32
	s_wait_dscnt 0x4
	v_div_scale_f32 v18, null, v6, v6, v20
	s_wait_dscnt 0x2
	v_div_scale_f32 v19, null, v11, v11, v9
	v_div_scale_f32 v25, s2, v9, v11, v9
	s_delay_alu instid0(VALU_DEP_3) | instskip(NEXT) | instid1(VALU_DEP_2)
	v_rcp_f32_e32 v21, v18
	v_rcp_f32_e32 v23, v19
	v_div_scale_f32 v24, vcc_lo, v20, v6, v20
	s_delay_alu instid0(TRANS32_DEP_2) | instskip(NEXT) | instid1(TRANS32_DEP_1)
	v_fma_f32 v14, -v18, v21, 1.0
	v_fma_f32 v15, -v19, v23, 1.0
	s_delay_alu instid0(VALU_DEP_1) | instskip(NEXT) | instid1(VALU_DEP_1)
	v_fmac_f32_e32 v23, v15, v23
	v_mul_f32_e32 v27, v25, v23
	s_delay_alu instid0(VALU_DEP_1) | instskip(SKIP_1) | instid1(VALU_DEP_2)
	v_fma_f32 v3, -v19, v27, v25
	v_fmac_f32_e32 v21, v14, v21
	v_dual_fmac_f32 v27, v3, v23 :: v_dual_add_nc_u32 v14, 0x1c00, v5
	s_delay_alu instid0(VALU_DEP_2) | instskip(NEXT) | instid1(VALU_DEP_1)
	v_mul_f32_e32 v26, v24, v21
	v_fma_f32 v28, -v18, v26, v24
	s_delay_alu instid0(VALU_DEP_1) | instskip(NEXT) | instid1(VALU_DEP_1)
	v_fmac_f32_e32 v26, v28, v21
	v_dual_fma_f32 v3, -v18, v26, v24 :: v_dual_fma_f32 v18, -v19, v27, v25
	s_wait_dscnt 0x0
	v_mov_b32_e32 v19, v17
	ds_load_2addr_b32 v[14:15], v14 offset0:253 offset1:255
	v_div_fmas_f32 v3, v3, v21, v26
	s_mov_b32 vcc_lo, s2
	v_div_fmas_f32 v21, v18, v23, v27
	s_delay_alu instid0(VALU_DEP_2) | instskip(NEXT) | instid1(VALU_DEP_2)
	v_div_fixup_f32 v20, v3, v6, v20
	v_div_fixup_f32 v21, v21, v11, v9
	v_mov_b32_e32 v9, v10
	s_delay_alu instid0(VALU_DEP_1) | instskip(SKIP_1) | instid1(VALU_DEP_1)
	v_pk_mul_f32 v[8:9], v[20:21], v[8:9]
	s_wait_dscnt 0x0
	v_dual_mov_b32 v18, v14 :: v_dual_sub_f32 v6, v7, v8
	v_add_nc_u32_e32 v7, 0xfc, v5
	s_delay_alu instid0(VALU_DEP_2) | instskip(NEXT) | instid1(VALU_DEP_1)
	v_pk_mul_f32 v[10:11], v[20:21], v[18:19]
	v_dual_sub_f32 v6, v6, v9 :: v_dual_sub_f32 v3, v15, v10
	v_dual_mul_f32 v10, v21, -v16 :: v_dual_mul_f32 v8, v20, -v22
	s_delay_alu instid0(VALU_DEP_2)
	v_sub_f32_e32 v3, v3, v11
	ds_store_b32 v5, v3 offset:8188
	ds_store_b32 v12, v8
	ds_store_2addr_stride64_b32 v7, v6, v10 offset0:7 offset1:15
.LBB8_4:
	s_or_b32 exec_lo, exec_lo, s3
	v_cmp_gt_u32_e64 s2, 64, v0
	v_lshlrev_b32_e32 v10, 5, v13
	s_wait_dscnt 0x0
	s_barrier_signal -1
	s_barrier_wait -1
	s_and_saveexec_b32 s4, s2
	s_cbranch_execz .LBB8_6
; %bb.5:
	v_lshl_or_b32 v3, v13, 3, 3
	v_add_nc_u32_e32 v6, 0x400, v10
	v_add_nc_u32_e32 v8, 0xc00, v10
	v_subrev_nc_u32_e32 v12, 20, v10
	s_delay_alu instid0(VALU_DEP_4) | instskip(NEXT) | instid1(VALU_DEP_1)
	v_min_u32_e32 v3, 0x1ff, v3
	v_dual_add_nc_u32 v5, -4, v10 :: v_dual_lshlrev_b32 v3, 2, v3
	ds_load_b32 v11, v5
	ds_load_2addr_b32 v[6:7], v6 offset0:251 offset1:255
	ds_load_2addr_b32 v[8:9], v8 offset0:251 offset1:255
	ds_load_2addr_stride64_b32 v[14:15], v3 offset1:8
	ds_load_b32 v12, v12
	ds_load_2addr_stride64_b32 v[18:19], v3 offset0:16 offset1:32
	s_wait_dscnt 0x4
	v_div_scale_f32 v20, null, v6, v6, v11
	s_wait_dscnt 0x2
	v_div_scale_f32 v21, null, v15, v15, v9
	v_div_scale_f32 v25, s3, v9, v15, v9
	s_delay_alu instid0(VALU_DEP_3) | instskip(NEXT) | instid1(VALU_DEP_2)
	v_rcp_f32_e32 v22, v20
	v_rcp_f32_e32 v23, v21
	v_div_scale_f32 v24, vcc_lo, v11, v6, v11
	s_delay_alu instid0(TRANS32_DEP_2) | instskip(NEXT) | instid1(TRANS32_DEP_1)
	v_fma_f32 v16, -v20, v22, 1.0
	v_fma_f32 v17, -v21, v23, 1.0
	s_delay_alu instid0(VALU_DEP_1) | instskip(NEXT) | instid1(VALU_DEP_1)
	v_fmac_f32_e32 v23, v17, v23
	v_dual_mul_f32 v27, v25, v23 :: v_dual_fmac_f32 v22, v16, v22
	s_delay_alu instid0(VALU_DEP_1) | instskip(NEXT) | instid1(VALU_DEP_1)
	v_fma_f32 v3, -v21, v27, v25
	v_dual_fmac_f32 v27, v3, v23 :: v_dual_add_nc_u32 v16, 0x1c00, v10
	s_delay_alu instid0(VALU_DEP_3) | instskip(SKIP_2) | instid1(VALU_DEP_1)
	v_mul_f32_e32 v26, v24, v22
	ds_load_2addr_b32 v[16:17], v16 offset0:251 offset1:255
	v_fma_f32 v28, -v20, v26, v24
	v_fmac_f32_e32 v26, v28, v22
	s_delay_alu instid0(VALU_DEP_1) | instskip(SKIP_2) | instid1(VALU_DEP_2)
	v_dual_fma_f32 v3, -v20, v26, v24 :: v_dual_fma_f32 v20, -v21, v27, v25
	s_wait_dscnt 0x1
	v_mov_b32_e32 v21, v19
	v_div_fmas_f32 v3, v3, v22, v26
	s_mov_b32 vcc_lo, s3
	v_div_fmas_f32 v23, v20, v23, v27
	s_wait_dscnt 0x0
	v_mov_b32_e32 v20, v16
	v_div_fixup_f32 v22, v3, v6, v11
	s_delay_alu instid0(VALU_DEP_3) | instskip(SKIP_1) | instid1(VALU_DEP_2)
	v_div_fixup_f32 v23, v23, v15, v9
	v_mov_b32_e32 v9, v14
	v_pk_mul_f32 v[14:15], v[22:23], v[20:21]
	s_delay_alu instid0(VALU_DEP_2) | instskip(SKIP_1) | instid1(VALU_DEP_2)
	v_pk_mul_f32 v[8:9], v[22:23], v[8:9]
	v_mul_f32_e64 v11, v23, -v18
	v_dual_sub_f32 v3, v17, v14 :: v_dual_sub_f32 v6, v7, v8
	v_mul_f32_e64 v8, v22, -v12
	v_add_nc_u32_e32 v7, 0xfc, v10
	s_delay_alu instid0(VALU_DEP_3)
	v_dual_sub_f32 v3, v3, v15 :: v_dual_sub_f32 v6, v6, v9
	ds_store_b32 v10, v3 offset:8188
	ds_store_b32 v5, v8
	ds_store_2addr_stride64_b32 v7, v6, v11 offset0:7 offset1:15
.LBB8_6:
	s_or_b32 exec_lo, exec_lo, s4
	s_wait_dscnt 0x0
	s_barrier_signal -1
	s_barrier_wait -1
	s_and_saveexec_b32 s3, s2
	s_cbranch_execz .LBB8_8
; %bb.7:
	v_add_nc_u32_e32 v3, 0xfc, v10
	v_add_nc_u32_e32 v5, -4, v10
	ds_load_2addr_stride64_b32 v[6:7], v3 offset0:7 offset1:15
	ds_load_b32 v3, v5
	ds_load_b32 v5, v10 offset:8188
	s_wait_dscnt 0x1
	ds_store_2addr_stride64_b32 v1, v3, v6 offset0:40 offset1:41
	s_wait_dscnt 0x1
	ds_store_2addr_stride64_b32 v1, v7, v5 offset0:42 offset1:44
.LBB8_8:
	s_or_b32 exec_lo, exec_lo, s3
	v_or_b32_e32 v5, 0x2800, v1
	v_add_nc_u32_e32 v12, 0x2a00, v1
	v_add_nc_u32_e32 v11, 0x2900, v1
	v_or_b32_e32 v3, 0x2c00, v1
	s_wait_dscnt 0x0
	s_barrier_signal -1
	s_barrier_wait -1
                                        ; implicit-def: $vgpr6_vgpr7
                                        ; implicit-def: $vgpr8_vgpr9
	s_and_saveexec_b32 s4, s2
	s_cbranch_execz .LBB8_10
; %bb.9:
	v_sub_nc_u32_e64 v6, v0, 1 clamp
	v_min_u32_e32 v8, 63, v13
	s_delay_alu instid0(VALU_DEP_1)
	v_dual_lshlrev_b32 v16, 2, v6 :: v_dual_lshlrev_b32 v18, 2, v8
	ds_load_b32 v13, v5
	ds_load_2addr_stride64_b32 v[6:7], v16 offset0:40 offset1:41
	ds_load_2addr_stride64_b32 v[8:9], v18 offset0:40 offset1:41
	ds_load_b32 v23, v12
	ds_load_b32 v15, v11
	;; [unrolled: 1-line block ×3, first 2 shown]
	s_wait_dscnt 0x2
	v_div_scale_f32 v22, null, v9, v9, v23
	v_div_scale_f32 v20, null, v7, v7, v13
	v_div_scale_f32 v25, vcc_lo, v13, v7, v13
	s_delay_alu instid0(VALU_DEP_3) | instskip(NEXT) | instid1(VALU_DEP_2)
	v_rcp_f32_e32 v24, v22
	v_rcp_f32_e32 v21, v20
	v_div_scale_f32 v27, s3, v23, v9, v23
	s_delay_alu instid0(TRANS32_DEP_1) | instskip(NEXT) | instid1(VALU_DEP_1)
	v_fma_f32 v17, -v20, v21, 1.0
	v_fmac_f32_e32 v21, v17, v21
	s_delay_alu instid0(TRANS32_DEP_2) | instskip(NEXT) | instid1(VALU_DEP_1)
	v_fma_f32 v17, -v22, v24, 1.0
	v_fmac_f32_e32 v24, v17, v24
	s_delay_alu instid0(VALU_DEP_3) | instskip(SKIP_2) | instid1(VALU_DEP_1)
	v_mul_f32_e32 v26, v25, v21
	ds_load_2addr_stride64_b32 v[16:17], v16 offset0:42 offset1:44
	v_dual_mul_f32 v28, v27, v24 :: v_dual_fma_f32 v19, -v20, v26, v25
	v_dual_fma_f32 v29, -v22, v28, v27 :: v_dual_fmac_f32 v26, v19, v21
	ds_load_2addr_stride64_b32 v[18:19], v18 offset0:42 offset1:44
	v_dual_fmac_f32 v28, v29, v24 :: v_dual_fma_f32 v20, -v20, v26, v25
	s_delay_alu instid0(VALU_DEP_1) | instskip(NEXT) | instid1(VALU_DEP_2)
	v_dual_mov_b32 v25, v8 :: v_dual_fma_f32 v22, -v22, v28, v27
	v_div_fmas_f32 v21, v20, v21, v26
	s_wait_dscnt 0x1
	v_mov_b32_e32 v20, v17
	s_mov_b32 vcc_lo, s3
	s_delay_alu instid0(VALU_DEP_2) | instskip(SKIP_3) | instid1(VALU_DEP_3)
	v_div_fixup_f32 v17, v21, v7, v13
	v_mov_b32_e32 v21, v16
	v_div_fmas_f32 v7, v22, v24, v28
	s_wait_dscnt 0x0
	v_dual_mov_b32 v22, v17 :: v_dual_mov_b32 v24, v19
	s_delay_alu instid0(VALU_DEP_2) | instskip(SKIP_1) | instid1(VALU_DEP_3)
	v_div_fixup_f32 v16, v7, v9, v23
	v_mov_b32_e32 v19, v6
	v_pk_fma_f32 v[8:9], v[22:23], v[20:21], v[14:15] op_sel_hi:[0,1,1] neg_lo:[1,0,0] neg_hi:[1,0,0]
	s_delay_alu instid0(VALU_DEP_1) | instskip(NEXT) | instid1(VALU_DEP_3)
	v_pk_fma_f32 v[6:7], v[16:17], v[24:25], v[8:9] op_sel_hi:[0,1,1] neg_lo:[1,0,0] neg_hi:[1,0,0]
	v_pk_mul_f32 v[8:9], v[16:17], v[18:19] neg_lo:[0,1] neg_hi:[0,1]
.LBB8_10:
	s_or_b32 exec_lo, exec_lo, s4
	s_barrier_signal -1
	s_barrier_wait -1
	s_and_saveexec_b32 s3, s2
	s_cbranch_execz .LBB8_12
; %bb.11:
	ds_store_b32 v5, v9
	ds_store_b32 v11, v7
	;; [unrolled: 1-line block ×4, first 2 shown]
.LBB8_12:
	s_or_b32 exec_lo, exec_lo, s3
	s_wait_dscnt 0x0
	s_barrier_signal -1
	s_barrier_wait -1
	s_and_saveexec_b32 s4, s2
	s_cbranch_execz .LBB8_14
; %bb.13:
	v_sub_nc_u32_e64 v6, v0, 2 clamp
	v_min_u32_e32 v7, 61, v0
	s_delay_alu instid0(VALU_DEP_1)
	v_dual_lshlrev_b32 v13, 2, v6 :: v_dual_lshlrev_b32 v8, 2, v7
	ds_load_b32 v21, v5
	ds_load_2addr_stride64_b32 v[6:7], v13 offset0:40 offset1:41
	s_wait_dscnt 0x0
	v_div_scale_f32 v20, null, v7, v7, v21
	v_div_scale_f32 v26, vcc_lo, v21, v7, v21
	s_delay_alu instid0(VALU_DEP_2) | instskip(SKIP_1) | instid1(TRANS32_DEP_1)
	v_rcp_f32_e32 v22, v20
	v_nop
	v_fma_f32 v16, -v20, v22, 1.0
	s_delay_alu instid0(VALU_DEP_1)
	v_dual_add_nc_u32 v18, 8, v8 :: v_dual_fmac_f32 v22, v16, v22
	ds_load_2addr_stride64_b32 v[8:9], v18 offset0:40 offset1:41
	ds_load_b32 v23, v12
	ds_load_b32 v15, v11
	;; [unrolled: 1-line block ×3, first 2 shown]
	ds_load_2addr_stride64_b32 v[18:19], v18 offset0:42 offset1:44
	s_wait_dscnt 0x3
	v_div_scale_f32 v24, null, v9, v9, v23
	v_div_scale_f32 v28, s3, v23, v9, v23
	s_delay_alu instid0(VALU_DEP_2) | instskip(SKIP_1) | instid1(TRANS32_DEP_1)
	v_rcp_f32_e32 v25, v24
	v_nop
	v_fma_f32 v16, -v24, v25, 1.0
	s_delay_alu instid0(VALU_DEP_1) | instskip(SKIP_2) | instid1(VALU_DEP_1)
	v_dual_mul_f32 v27, v26, v22 :: v_dual_fmac_f32 v25, v16, v25
	ds_load_2addr_stride64_b32 v[16:17], v13 offset0:42 offset1:44
	v_fma_f32 v13, -v20, v27, v26
	v_dual_mul_f32 v29, v28, v25 :: v_dual_fmac_f32 v27, v13, v22
	s_delay_alu instid0(VALU_DEP_1) | instskip(NEXT) | instid1(VALU_DEP_1)
	v_fma_f32 v13, -v24, v29, v28
	v_dual_fma_f32 v20, -v20, v27, v26 :: v_dual_fmac_f32 v29, v13, v25
	s_delay_alu instid0(VALU_DEP_1) | instskip(SKIP_3) | instid1(VALU_DEP_2)
	v_div_fmas_f32 v13, v20, v22, v27
	s_mov_b32 vcc_lo, s3
	s_wait_dscnt 0x0
	v_mov_b32_e32 v20, v17
	v_div_fixup_f32 v17, v13, v7, v21
	v_mov_b32_e32 v21, v16
	v_dual_fma_f32 v22, -v24, v29, v28 :: v_dual_mov_b32 v24, v19
	v_mov_b32_e32 v19, v6
	s_delay_alu instid0(VALU_DEP_2) | instskip(SKIP_1) | instid1(VALU_DEP_2)
	v_div_fmas_f32 v7, v22, v25, v29
	v_dual_mov_b32 v22, v17 :: v_dual_mov_b32 v25, v8
	v_div_fixup_f32 v16, v7, v9, v23
	s_delay_alu instid0(VALU_DEP_2) | instskip(NEXT) | instid1(VALU_DEP_1)
	v_pk_fma_f32 v[8:9], v[22:23], v[20:21], v[14:15] op_sel_hi:[0,1,1] neg_lo:[1,0,0] neg_hi:[1,0,0]
	v_pk_fma_f32 v[6:7], v[16:17], v[24:25], v[8:9] op_sel_hi:[0,1,1] neg_lo:[1,0,0] neg_hi:[1,0,0]
	v_pk_mul_f32 v[8:9], v[16:17], v[18:19] neg_lo:[0,1] neg_hi:[0,1]
.LBB8_14:
	s_or_b32 exec_lo, exec_lo, s4
	s_barrier_signal -1
	s_barrier_wait -1
	s_and_saveexec_b32 s3, s2
	s_cbranch_execz .LBB8_16
; %bb.15:
	ds_store_b32 v5, v9
	ds_store_b32 v11, v7
	;; [unrolled: 1-line block ×4, first 2 shown]
.LBB8_16:
	s_or_b32 exec_lo, exec_lo, s3
	s_wait_dscnt 0x0
	s_barrier_signal -1
	s_barrier_wait -1
	s_and_saveexec_b32 s4, s2
	s_cbranch_execz .LBB8_18
; %bb.17:
	v_sub_nc_u32_e64 v6, v0, 4 clamp
	v_min_u32_e32 v7, 59, v0
	s_delay_alu instid0(VALU_DEP_1)
	v_dual_lshlrev_b32 v13, 2, v6 :: v_dual_lshlrev_b32 v8, 2, v7
	ds_load_b32 v21, v5
	ds_load_2addr_stride64_b32 v[6:7], v13 offset0:40 offset1:41
	s_wait_dscnt 0x0
	v_div_scale_f32 v20, null, v7, v7, v21
	v_div_scale_f32 v26, vcc_lo, v21, v7, v21
	s_delay_alu instid0(VALU_DEP_2) | instskip(SKIP_1) | instid1(TRANS32_DEP_1)
	v_rcp_f32_e32 v22, v20
	v_nop
	v_fma_f32 v16, -v20, v22, 1.0
	s_delay_alu instid0(VALU_DEP_1)
	v_dual_add_nc_u32 v18, 16, v8 :: v_dual_fmac_f32 v22, v16, v22
	ds_load_2addr_stride64_b32 v[8:9], v18 offset0:40 offset1:41
	ds_load_b32 v23, v12
	ds_load_b32 v15, v11
	;; [unrolled: 1-line block ×3, first 2 shown]
	ds_load_2addr_stride64_b32 v[18:19], v18 offset0:42 offset1:44
	s_wait_dscnt 0x3
	v_div_scale_f32 v24, null, v9, v9, v23
	v_div_scale_f32 v28, s3, v23, v9, v23
	s_delay_alu instid0(VALU_DEP_2) | instskip(SKIP_1) | instid1(TRANS32_DEP_1)
	v_rcp_f32_e32 v25, v24
	v_nop
	v_fma_f32 v16, -v24, v25, 1.0
	s_delay_alu instid0(VALU_DEP_1) | instskip(SKIP_2) | instid1(VALU_DEP_1)
	v_dual_mul_f32 v27, v26, v22 :: v_dual_fmac_f32 v25, v16, v25
	ds_load_2addr_stride64_b32 v[16:17], v13 offset0:42 offset1:44
	v_fma_f32 v13, -v20, v27, v26
	v_dual_mul_f32 v29, v28, v25 :: v_dual_fmac_f32 v27, v13, v22
	s_delay_alu instid0(VALU_DEP_1) | instskip(NEXT) | instid1(VALU_DEP_1)
	v_fma_f32 v13, -v24, v29, v28
	v_dual_fma_f32 v20, -v20, v27, v26 :: v_dual_fmac_f32 v29, v13, v25
	s_delay_alu instid0(VALU_DEP_1) | instskip(SKIP_3) | instid1(VALU_DEP_2)
	v_div_fmas_f32 v13, v20, v22, v27
	s_mov_b32 vcc_lo, s3
	s_wait_dscnt 0x0
	v_mov_b32_e32 v20, v17
	v_div_fixup_f32 v17, v13, v7, v21
	v_mov_b32_e32 v21, v16
	v_dual_fma_f32 v22, -v24, v29, v28 :: v_dual_mov_b32 v24, v19
	v_mov_b32_e32 v19, v6
	s_delay_alu instid0(VALU_DEP_2) | instskip(SKIP_1) | instid1(VALU_DEP_2)
	v_div_fmas_f32 v7, v22, v25, v29
	v_dual_mov_b32 v22, v17 :: v_dual_mov_b32 v25, v8
	v_div_fixup_f32 v16, v7, v9, v23
	s_delay_alu instid0(VALU_DEP_2) | instskip(NEXT) | instid1(VALU_DEP_1)
	v_pk_fma_f32 v[8:9], v[22:23], v[20:21], v[14:15] op_sel_hi:[0,1,1] neg_lo:[1,0,0] neg_hi:[1,0,0]
	v_pk_fma_f32 v[6:7], v[16:17], v[24:25], v[8:9] op_sel_hi:[0,1,1] neg_lo:[1,0,0] neg_hi:[1,0,0]
	v_pk_mul_f32 v[8:9], v[16:17], v[18:19] neg_lo:[0,1] neg_hi:[0,1]
.LBB8_18:
	s_or_b32 exec_lo, exec_lo, s4
	s_barrier_signal -1
	s_barrier_wait -1
	s_and_saveexec_b32 s3, s2
	s_cbranch_execz .LBB8_20
; %bb.19:
	ds_store_b32 v5, v9
	ds_store_b32 v11, v7
	;; [unrolled: 1-line block ×4, first 2 shown]
.LBB8_20:
	s_or_b32 exec_lo, exec_lo, s3
	s_wait_dscnt 0x0
	s_barrier_signal -1
	s_barrier_wait -1
	s_and_saveexec_b32 s4, s2
	s_cbranch_execz .LBB8_22
; %bb.21:
	v_sub_nc_u32_e64 v6, v0, 8 clamp
	v_min_u32_e32 v7, 55, v0
	s_delay_alu instid0(VALU_DEP_1)
	v_dual_lshlrev_b32 v13, 2, v6 :: v_dual_lshlrev_b32 v8, 2, v7
	ds_load_b32 v21, v5
	ds_load_2addr_stride64_b32 v[6:7], v13 offset0:40 offset1:41
	s_wait_dscnt 0x0
	v_div_scale_f32 v20, null, v7, v7, v21
	v_div_scale_f32 v26, vcc_lo, v21, v7, v21
	s_delay_alu instid0(VALU_DEP_2) | instskip(SKIP_1) | instid1(TRANS32_DEP_1)
	v_rcp_f32_e32 v22, v20
	v_nop
	v_fma_f32 v16, -v20, v22, 1.0
	s_delay_alu instid0(VALU_DEP_1)
	v_dual_add_nc_u32 v18, 32, v8 :: v_dual_fmac_f32 v22, v16, v22
	ds_load_2addr_stride64_b32 v[8:9], v18 offset0:40 offset1:41
	ds_load_b32 v23, v12
	ds_load_b32 v15, v11
	;; [unrolled: 1-line block ×3, first 2 shown]
	ds_load_2addr_stride64_b32 v[18:19], v18 offset0:42 offset1:44
	s_wait_dscnt 0x3
	v_div_scale_f32 v24, null, v9, v9, v23
	v_div_scale_f32 v28, s3, v23, v9, v23
	s_delay_alu instid0(VALU_DEP_2) | instskip(SKIP_1) | instid1(TRANS32_DEP_1)
	v_rcp_f32_e32 v25, v24
	v_nop
	v_fma_f32 v16, -v24, v25, 1.0
	s_delay_alu instid0(VALU_DEP_1) | instskip(SKIP_2) | instid1(VALU_DEP_1)
	v_dual_mul_f32 v27, v26, v22 :: v_dual_fmac_f32 v25, v16, v25
	ds_load_2addr_stride64_b32 v[16:17], v13 offset0:42 offset1:44
	v_fma_f32 v13, -v20, v27, v26
	v_dual_mul_f32 v29, v28, v25 :: v_dual_fmac_f32 v27, v13, v22
	s_delay_alu instid0(VALU_DEP_1) | instskip(NEXT) | instid1(VALU_DEP_1)
	v_fma_f32 v13, -v24, v29, v28
	v_dual_fma_f32 v20, -v20, v27, v26 :: v_dual_fmac_f32 v29, v13, v25
	s_delay_alu instid0(VALU_DEP_1) | instskip(SKIP_3) | instid1(VALU_DEP_2)
	v_div_fmas_f32 v13, v20, v22, v27
	s_mov_b32 vcc_lo, s3
	s_wait_dscnt 0x0
	v_mov_b32_e32 v20, v17
	v_div_fixup_f32 v17, v13, v7, v21
	v_mov_b32_e32 v21, v16
	v_dual_fma_f32 v22, -v24, v29, v28 :: v_dual_mov_b32 v24, v19
	v_mov_b32_e32 v19, v6
	s_delay_alu instid0(VALU_DEP_2) | instskip(SKIP_1) | instid1(VALU_DEP_2)
	v_div_fmas_f32 v7, v22, v25, v29
	v_dual_mov_b32 v22, v17 :: v_dual_mov_b32 v25, v8
	v_div_fixup_f32 v16, v7, v9, v23
	s_delay_alu instid0(VALU_DEP_2) | instskip(NEXT) | instid1(VALU_DEP_1)
	v_pk_fma_f32 v[8:9], v[22:23], v[20:21], v[14:15] op_sel_hi:[0,1,1] neg_lo:[1,0,0] neg_hi:[1,0,0]
	v_pk_fma_f32 v[6:7], v[16:17], v[24:25], v[8:9] op_sel_hi:[0,1,1] neg_lo:[1,0,0] neg_hi:[1,0,0]
	v_pk_mul_f32 v[8:9], v[16:17], v[18:19] neg_lo:[0,1] neg_hi:[0,1]
.LBB8_22:
	s_or_b32 exec_lo, exec_lo, s4
	s_barrier_signal -1
	s_barrier_wait -1
	s_and_saveexec_b32 s3, s2
	s_cbranch_execz .LBB8_24
; %bb.23:
	ds_store_b32 v5, v9
	ds_store_b32 v11, v7
	;; [unrolled: 1-line block ×4, first 2 shown]
.LBB8_24:
	s_or_b32 exec_lo, exec_lo, s3
	s_wait_dscnt 0x0
	s_barrier_signal -1
	s_barrier_wait -1
	s_and_saveexec_b32 s4, s2
	s_cbranch_execz .LBB8_26
; %bb.25:
	v_sub_nc_u32_e64 v6, v0, 16 clamp
	v_min_u32_e32 v7, 47, v0
	s_delay_alu instid0(VALU_DEP_1)
	v_dual_lshlrev_b32 v13, 2, v6 :: v_dual_lshlrev_b32 v8, 2, v7
	ds_load_b32 v21, v5
	ds_load_2addr_stride64_b32 v[6:7], v13 offset0:40 offset1:41
	s_wait_dscnt 0x0
	v_div_scale_f32 v20, null, v7, v7, v21
	v_div_scale_f32 v26, vcc_lo, v21, v7, v21
	s_delay_alu instid0(VALU_DEP_2) | instskip(SKIP_1) | instid1(TRANS32_DEP_1)
	v_rcp_f32_e32 v22, v20
	v_nop
	v_fma_f32 v16, -v20, v22, 1.0
	s_delay_alu instid0(VALU_DEP_1)
	v_dual_add_nc_u32 v18, 64, v8 :: v_dual_fmac_f32 v22, v16, v22
	ds_load_2addr_stride64_b32 v[8:9], v18 offset0:40 offset1:41
	ds_load_b32 v23, v12
	ds_load_b32 v15, v11
	;; [unrolled: 1-line block ×3, first 2 shown]
	ds_load_2addr_stride64_b32 v[18:19], v18 offset0:42 offset1:44
	s_wait_dscnt 0x3
	v_div_scale_f32 v24, null, v9, v9, v23
	v_div_scale_f32 v28, s3, v23, v9, v23
	s_delay_alu instid0(VALU_DEP_2) | instskip(SKIP_1) | instid1(TRANS32_DEP_1)
	v_rcp_f32_e32 v25, v24
	v_nop
	v_fma_f32 v16, -v24, v25, 1.0
	s_delay_alu instid0(VALU_DEP_1) | instskip(SKIP_2) | instid1(VALU_DEP_1)
	v_dual_mul_f32 v27, v26, v22 :: v_dual_fmac_f32 v25, v16, v25
	ds_load_2addr_stride64_b32 v[16:17], v13 offset0:42 offset1:44
	v_fma_f32 v13, -v20, v27, v26
	v_dual_mul_f32 v29, v28, v25 :: v_dual_fmac_f32 v27, v13, v22
	s_delay_alu instid0(VALU_DEP_1) | instskip(NEXT) | instid1(VALU_DEP_1)
	v_fma_f32 v13, -v24, v29, v28
	v_dual_fma_f32 v20, -v20, v27, v26 :: v_dual_fmac_f32 v29, v13, v25
	s_delay_alu instid0(VALU_DEP_1) | instskip(SKIP_3) | instid1(VALU_DEP_2)
	v_div_fmas_f32 v13, v20, v22, v27
	s_mov_b32 vcc_lo, s3
	s_wait_dscnt 0x0
	v_mov_b32_e32 v20, v17
	v_div_fixup_f32 v17, v13, v7, v21
	v_mov_b32_e32 v21, v16
	v_dual_fma_f32 v22, -v24, v29, v28 :: v_dual_mov_b32 v24, v19
	v_mov_b32_e32 v19, v6
	s_delay_alu instid0(VALU_DEP_2) | instskip(SKIP_1) | instid1(VALU_DEP_2)
	v_div_fmas_f32 v7, v22, v25, v29
	v_dual_mov_b32 v22, v17 :: v_dual_mov_b32 v25, v8
	v_div_fixup_f32 v16, v7, v9, v23
	s_delay_alu instid0(VALU_DEP_2) | instskip(NEXT) | instid1(VALU_DEP_1)
	v_pk_fma_f32 v[8:9], v[22:23], v[20:21], v[14:15] op_sel_hi:[0,1,1] neg_lo:[1,0,0] neg_hi:[1,0,0]
	v_pk_fma_f32 v[6:7], v[16:17], v[24:25], v[8:9] op_sel_hi:[0,1,1] neg_lo:[1,0,0] neg_hi:[1,0,0]
	v_pk_mul_f32 v[8:9], v[16:17], v[18:19] neg_lo:[0,1] neg_hi:[0,1]
.LBB8_26:
	s_or_b32 exec_lo, exec_lo, s4
	s_barrier_signal -1
	s_barrier_wait -1
	s_and_saveexec_b32 s3, s2
	s_cbranch_execz .LBB8_28
; %bb.27:
	ds_store_b32 v5, v9
	ds_store_b32 v11, v7
	;; [unrolled: 1-line block ×4, first 2 shown]
.LBB8_28:
	s_or_b32 exec_lo, exec_lo, s3
	s_delay_alu instid0(SALU_CYCLE_1)
	s_mov_b32 s3, exec_lo
	s_wait_dscnt 0x0
	s_barrier_signal -1
	s_barrier_wait -1
	v_cmpx_gt_u32_e32 32, v0
	s_cbranch_execz .LBB8_30
; %bb.29:
	ds_load_b32 v12, v12
	ds_load_b32 v5, v5 offset:128
	ds_load_2addr_b32 v[6:7], v11 offset1:32
	s_wait_dscnt 0x1
	v_mul_f32_e32 v8, v12, v5
	s_wait_dscnt 0x0
	s_delay_alu instid0(VALU_DEP_1) | instskip(NEXT) | instid1(VALU_DEP_1)
	v_fma_f32 v11, v7, v6, -v8
	v_div_scale_f32 v13, null, v11, v11, 1.0
	v_div_scale_f32 v15, vcc_lo, 1.0, v11, 1.0
	s_delay_alu instid0(VALU_DEP_2) | instskip(SKIP_1) | instid1(TRANS32_DEP_1)
	v_rcp_f32_e32 v14, v13
	v_nop
	v_fma_f32 v8, -v13, v14, 1.0
	s_delay_alu instid0(VALU_DEP_1) | instskip(SKIP_2) | instid1(VALU_DEP_1)
	v_fmac_f32_e32 v14, v8, v14
	ds_load_2addr_b32 v[8:9], v3 offset1:32
	v_mul_f32_e32 v3, v15, v14
	v_fma_f32 v16, -v13, v3, v15
	s_wait_dscnt 0x0
	s_delay_alu instid0(VALU_DEP_1) | instskip(NEXT) | instid1(VALU_DEP_1)
	v_dual_fmac_f32 v3, v16, v14 :: v_dual_mul_f32 v5, v5, v8
	v_dual_fma_f32 v13, -v13, v3, v15 :: v_dual_mul_f32 v12, v12, v9
	s_delay_alu instid0(VALU_DEP_2) | instskip(NEXT) | instid1(VALU_DEP_2)
	v_fma_f32 v5, v6, v9, -v5
	v_div_fmas_f32 v3, v13, v14, v3
	s_delay_alu instid0(VALU_DEP_3) | instskip(NEXT) | instid1(VALU_DEP_2)
	v_fma_f32 v7, v7, v8, -v12
	v_div_fixup_f32 v3, v3, v11, 1.0
	s_delay_alu instid0(VALU_DEP_1)
	v_dual_mul_f32 v6, v3, v7 :: v_dual_mul_f32 v3, v3, v5
	v_add_nc_u32_e32 v5, 0x2800, v1
	ds_store_2addr_b32 v5, v6, v3 offset0:192 offset1:224
.LBB8_30:
	s_or_b32 exec_lo, exec_lo, s3
	v_dual_ashrrev_i32 v3, 31, v2 :: v_dual_mov_b32 v5, 0
	s_wait_dscnt 0x0
	s_barrier_signal -1
	s_barrier_wait -1
	s_and_saveexec_b32 s3, s2
	s_cbranch_execz .LBB8_32
; %bb.31:
	ds_load_b32 v6, v1 offset:11008
	s_wait_dscnt 0x0
	ds_store_b32 v10, v6 offset:6140
.LBB8_32:
	s_or_b32 exec_lo, exec_lo, s3
	v_lshlrev_b32_e32 v6, 3, v0
	s_wait_dscnt 0x0
	s_barrier_signal -1
	s_barrier_wait -1
	s_and_saveexec_b32 s3, s2
	s_cbranch_execz .LBB8_36
; %bb.33:
	v_lshlrev_b32_e32 v7, 5, v0
	s_mov_b32 s2, exec_lo
	ds_load_b32 v8, v7 offset:8204
	v_lshlrev_b32_e32 v7, 2, v6
	v_cmpx_ne_u32_e32 0, v0
	s_cbranch_execz .LBB8_35
; %bb.34:
	ds_load_b32 v9, v7 offset:12
	ds_load_b32 v10, v7 offset:6140
	s_wait_dscnt 0x0
	v_fma_f32 v8, -v9, v10, v8
.LBB8_35:
	s_or_b32 exec_lo, exec_lo, s2
	s_delay_alu instid0(VALU_DEP_2) | instskip(SKIP_4) | instid1(VALU_DEP_1)
	v_add_nc_u32_e32 v9, 12, v7
	ds_load_b32 v12, v7 offset:6172
	ds_load_2addr_stride64_b32 v[10:11], v9 offset0:8 offset1:16
	s_wait_dscnt 0x0
	v_fma_f32 v8, -v11, v12, v8
	v_div_scale_f32 v9, null, v10, v10, v8
	s_delay_alu instid0(VALU_DEP_1) | instskip(SKIP_1) | instid1(TRANS32_DEP_1)
	v_rcp_f32_e32 v11, v9
	v_nop
	v_fma_f32 v12, -v9, v11, 1.0
	s_delay_alu instid0(VALU_DEP_1) | instskip(SKIP_1) | instid1(VALU_DEP_1)
	v_fmac_f32_e32 v11, v12, v11
	v_div_scale_f32 v12, vcc_lo, v8, v10, v8
	v_mul_f32_e32 v13, v12, v11
	s_delay_alu instid0(VALU_DEP_1) | instskip(NEXT) | instid1(VALU_DEP_1)
	v_fma_f32 v14, -v9, v13, v12
	v_fmac_f32_e32 v13, v14, v11
	s_delay_alu instid0(VALU_DEP_1) | instskip(NEXT) | instid1(VALU_DEP_1)
	v_fma_f32 v9, -v9, v13, v12
	v_div_fmas_f32 v9, v9, v11, v13
	s_delay_alu instid0(VALU_DEP_1)
	v_div_fixup_f32 v8, v9, v10, v8
	ds_store_b32 v7, v8 offset:6156
.LBB8_36:
	s_or_b32 exec_lo, exec_lo, s3
	v_lshl_add_u64 v[2:3], v[2:3], 2, s[10:11]
	v_lshl_add_u64 v[4:5], v[4:5], 2, s[10:11]
	s_wait_dscnt 0x0
	s_barrier_signal -1
	s_barrier_wait -1
	s_and_saveexec_b32 s2, s1
	s_cbranch_execz .LBB8_40
; %bb.37:
	v_lshlrev_b32_e32 v7, 4, v0
	s_mov_b32 s1, exec_lo
	ds_load_b32 v8, v7 offset:8196
	v_lshlrev_b32_e32 v7, 2, v1
	v_cmpx_ne_u32_e32 0, v0
	s_cbranch_execz .LBB8_39
; %bb.38:
	ds_load_b32 v9, v7 offset:4
	ds_load_b32 v10, v7 offset:6140
	s_wait_dscnt 0x0
	v_fma_f32 v8, -v9, v10, v8
.LBB8_39:
	s_or_b32 exec_lo, exec_lo, s1
	s_delay_alu instid0(VALU_DEP_2) | instskip(SKIP_4) | instid1(VALU_DEP_1)
	v_add_nc_u32_e32 v9, 4, v7
	ds_load_b32 v12, v7 offset:6156
	ds_load_2addr_stride64_b32 v[10:11], v9 offset0:8 offset1:16
	s_wait_dscnt 0x0
	v_fma_f32 v8, -v11, v12, v8
	v_div_scale_f32 v9, null, v10, v10, v8
	s_delay_alu instid0(VALU_DEP_1) | instskip(SKIP_1) | instid1(TRANS32_DEP_1)
	v_rcp_f32_e32 v11, v9
	v_nop
	v_fma_f32 v12, -v9, v11, 1.0
	s_delay_alu instid0(VALU_DEP_1) | instskip(SKIP_1) | instid1(VALU_DEP_1)
	v_fmac_f32_e32 v11, v12, v11
	v_div_scale_f32 v12, vcc_lo, v8, v10, v8
	v_mul_f32_e32 v13, v12, v11
	s_delay_alu instid0(VALU_DEP_1) | instskip(NEXT) | instid1(VALU_DEP_1)
	v_fma_f32 v14, -v9, v13, v12
	v_fmac_f32_e32 v13, v14, v11
	s_delay_alu instid0(VALU_DEP_1) | instskip(NEXT) | instid1(VALU_DEP_1)
	v_fma_f32 v9, -v9, v13, v12
	v_div_fmas_f32 v9, v9, v11, v13
	s_delay_alu instid0(VALU_DEP_1)
	v_div_fixup_f32 v8, v9, v10, v8
	ds_store_b32 v7, v8 offset:6148
.LBB8_40:
	s_or_b32 exec_lo, exec_lo, s2
	s_wait_dscnt 0x0
	s_barrier_signal -1
	s_barrier_wait -1
	s_and_saveexec_b32 s1, s0
	s_cbranch_execz .LBB8_44
; %bb.41:
	ds_load_b32 v6, v6 offset:8192
	v_lshlrev_b32_e32 v7, 1, v0
	v_cmp_ne_u32_e32 vcc_lo, 0, v0
	s_delay_alu instid0(VALU_DEP_2)
	v_lshlrev_b32_e32 v0, 2, v7
	s_and_saveexec_b32 s0, vcc_lo
	s_cbranch_execz .LBB8_43
; %bb.42:
	ds_load_b32 v7, v0
	ds_load_b32 v8, v0 offset:6140
	s_wait_dscnt 0x0
	v_fma_f32 v6, -v7, v8, v6
.LBB8_43:
	s_or_b32 exec_lo, exec_lo, s0
	ds_load_2addr_stride64_b32 v[8:9], v0 offset0:8 offset1:16
	ds_load_b32 v7, v0 offset:6148
	s_wait_dscnt 0x0
	v_fma_f32 v6, -v9, v7, v6
	s_delay_alu instid0(VALU_DEP_1) | instskip(NEXT) | instid1(VALU_DEP_1)
	v_div_scale_f32 v7, null, v8, v8, v6
	v_rcp_f32_e32 v9, v7
	v_nop
	s_delay_alu instid0(TRANS32_DEP_1) | instskip(NEXT) | instid1(VALU_DEP_1)
	v_fma_f32 v10, -v7, v9, 1.0
	v_fmac_f32_e32 v9, v10, v9
	v_div_scale_f32 v10, vcc_lo, v6, v8, v6
	s_delay_alu instid0(VALU_DEP_1) | instskip(NEXT) | instid1(VALU_DEP_1)
	v_mul_f32_e32 v11, v10, v9
	v_fma_f32 v12, -v7, v11, v10
	s_delay_alu instid0(VALU_DEP_1) | instskip(NEXT) | instid1(VALU_DEP_1)
	v_fmac_f32_e32 v11, v12, v9
	v_fma_f32 v7, -v7, v11, v10
	s_delay_alu instid0(VALU_DEP_1) | instskip(NEXT) | instid1(VALU_DEP_1)
	v_div_fmas_f32 v7, v7, v9, v11
	v_div_fixup_f32 v6, v7, v8, v6
	ds_store_b32 v0, v6 offset:6144
.LBB8_44:
	s_or_b32 exec_lo, exec_lo, s1
	s_wait_dscnt 0x0
	s_barrier_signal -1
	s_barrier_wait -1
	ds_load_2addr_stride64_b32 v[0:1], v1 offset0:24 offset1:28
	s_wait_dscnt 0x0
	s_clause 0x1
	global_store_b32 v[2:3], v0, off
	global_store_b32 v[4:5], v1, off
	s_endpgm
	.section	.rodata,"a",@progbits
	.p2align	6, 0x0
	.amdhsa_kernel _ZN9rocsparseL51gtsv_nopivot_strided_batch_crpcr_pow2_shared_kernelILj256ELj64EfEEviiiPKT1_S3_S3_PS1_
		.amdhsa_group_segment_fixed_size 11520
		.amdhsa_private_segment_fixed_size 0
		.amdhsa_kernarg_size 48
		.amdhsa_user_sgpr_count 2
		.amdhsa_user_sgpr_dispatch_ptr 0
		.amdhsa_user_sgpr_queue_ptr 0
		.amdhsa_user_sgpr_kernarg_segment_ptr 1
		.amdhsa_user_sgpr_dispatch_id 0
		.amdhsa_user_sgpr_kernarg_preload_length 0
		.amdhsa_user_sgpr_kernarg_preload_offset 0
		.amdhsa_user_sgpr_private_segment_size 0
		.amdhsa_wavefront_size32 1
		.amdhsa_uses_dynamic_stack 0
		.amdhsa_enable_private_segment 0
		.amdhsa_system_sgpr_workgroup_id_x 1
		.amdhsa_system_sgpr_workgroup_id_y 0
		.amdhsa_system_sgpr_workgroup_id_z 0
		.amdhsa_system_sgpr_workgroup_info 0
		.amdhsa_system_vgpr_workitem_id 0
		.amdhsa_next_free_vgpr 30
		.amdhsa_next_free_sgpr 13
		.amdhsa_named_barrier_count 0
		.amdhsa_reserve_vcc 1
		.amdhsa_float_round_mode_32 0
		.amdhsa_float_round_mode_16_64 0
		.amdhsa_float_denorm_mode_32 3
		.amdhsa_float_denorm_mode_16_64 3
		.amdhsa_fp16_overflow 0
		.amdhsa_memory_ordered 1
		.amdhsa_forward_progress 1
		.amdhsa_inst_pref_size 38
		.amdhsa_round_robin_scheduling 0
		.amdhsa_exception_fp_ieee_invalid_op 0
		.amdhsa_exception_fp_denorm_src 0
		.amdhsa_exception_fp_ieee_div_zero 0
		.amdhsa_exception_fp_ieee_overflow 0
		.amdhsa_exception_fp_ieee_underflow 0
		.amdhsa_exception_fp_ieee_inexact 0
		.amdhsa_exception_int_div_zero 0
	.end_amdhsa_kernel
	.section	.text._ZN9rocsparseL51gtsv_nopivot_strided_batch_crpcr_pow2_shared_kernelILj256ELj64EfEEviiiPKT1_S3_S3_PS1_,"axG",@progbits,_ZN9rocsparseL51gtsv_nopivot_strided_batch_crpcr_pow2_shared_kernelILj256ELj64EfEEviiiPKT1_S3_S3_PS1_,comdat
.Lfunc_end8:
	.size	_ZN9rocsparseL51gtsv_nopivot_strided_batch_crpcr_pow2_shared_kernelILj256ELj64EfEEviiiPKT1_S3_S3_PS1_, .Lfunc_end8-_ZN9rocsparseL51gtsv_nopivot_strided_batch_crpcr_pow2_shared_kernelILj256ELj64EfEEviiiPKT1_S3_S3_PS1_
                                        ; -- End function
	.set _ZN9rocsparseL51gtsv_nopivot_strided_batch_crpcr_pow2_shared_kernelILj256ELj64EfEEviiiPKT1_S3_S3_PS1_.num_vgpr, 30
	.set _ZN9rocsparseL51gtsv_nopivot_strided_batch_crpcr_pow2_shared_kernelILj256ELj64EfEEviiiPKT1_S3_S3_PS1_.num_agpr, 0
	.set _ZN9rocsparseL51gtsv_nopivot_strided_batch_crpcr_pow2_shared_kernelILj256ELj64EfEEviiiPKT1_S3_S3_PS1_.numbered_sgpr, 13
	.set _ZN9rocsparseL51gtsv_nopivot_strided_batch_crpcr_pow2_shared_kernelILj256ELj64EfEEviiiPKT1_S3_S3_PS1_.num_named_barrier, 0
	.set _ZN9rocsparseL51gtsv_nopivot_strided_batch_crpcr_pow2_shared_kernelILj256ELj64EfEEviiiPKT1_S3_S3_PS1_.private_seg_size, 0
	.set _ZN9rocsparseL51gtsv_nopivot_strided_batch_crpcr_pow2_shared_kernelILj256ELj64EfEEviiiPKT1_S3_S3_PS1_.uses_vcc, 1
	.set _ZN9rocsparseL51gtsv_nopivot_strided_batch_crpcr_pow2_shared_kernelILj256ELj64EfEEviiiPKT1_S3_S3_PS1_.uses_flat_scratch, 0
	.set _ZN9rocsparseL51gtsv_nopivot_strided_batch_crpcr_pow2_shared_kernelILj256ELj64EfEEviiiPKT1_S3_S3_PS1_.has_dyn_sized_stack, 0
	.set _ZN9rocsparseL51gtsv_nopivot_strided_batch_crpcr_pow2_shared_kernelILj256ELj64EfEEviiiPKT1_S3_S3_PS1_.has_recursion, 0
	.set _ZN9rocsparseL51gtsv_nopivot_strided_batch_crpcr_pow2_shared_kernelILj256ELj64EfEEviiiPKT1_S3_S3_PS1_.has_indirect_call, 0
	.section	.AMDGPU.csdata,"",@progbits
; Kernel info:
; codeLenInByte = 4864
; TotalNumSgprs: 15
; NumVgprs: 30
; ScratchSize: 0
; MemoryBound: 0
; FloatMode: 240
; IeeeMode: 1
; LDSByteSize: 11520 bytes/workgroup (compile time only)
; SGPRBlocks: 0
; VGPRBlocks: 1
; NumSGPRsForWavesPerEU: 15
; NumVGPRsForWavesPerEU: 30
; NamedBarCnt: 0
; Occupancy: 16
; WaveLimiterHint : 0
; COMPUTE_PGM_RSRC2:SCRATCH_EN: 0
; COMPUTE_PGM_RSRC2:USER_SGPR: 2
; COMPUTE_PGM_RSRC2:TRAP_HANDLER: 0
; COMPUTE_PGM_RSRC2:TGID_X_EN: 1
; COMPUTE_PGM_RSRC2:TGID_Y_EN: 0
; COMPUTE_PGM_RSRC2:TGID_Z_EN: 0
; COMPUTE_PGM_RSRC2:TIDIG_COMP_CNT: 0
	.section	.text._ZN9rocsparseL44gtsv_nopivot_strided_batch_pcr_shared_kernelILj4EfEEviiiPKT0_S3_S3_PS1_,"axG",@progbits,_ZN9rocsparseL44gtsv_nopivot_strided_batch_pcr_shared_kernelILj4EfEEviiiPKT0_S3_S3_PS1_,comdat
	.globl	_ZN9rocsparseL44gtsv_nopivot_strided_batch_pcr_shared_kernelILj4EfEEviiiPKT0_S3_S3_PS1_ ; -- Begin function _ZN9rocsparseL44gtsv_nopivot_strided_batch_pcr_shared_kernelILj4EfEEviiiPKT0_S3_S3_PS1_
	.p2align	8
	.type	_ZN9rocsparseL44gtsv_nopivot_strided_batch_pcr_shared_kernelILj4EfEEviiiPKT0_S3_S3_PS1_,@function
_ZN9rocsparseL44gtsv_nopivot_strided_batch_pcr_shared_kernelILj4EfEEviiiPKT0_S3_S3_PS1_: ; @_ZN9rocsparseL44gtsv_nopivot_strided_batch_pcr_shared_kernelILj4EfEEviiiPKT0_S3_S3_PS1_
; %bb.0:
	s_clause 0x1
	s_load_b32 s2, s[0:1], 0x8
	s_load_b32 s3, s[0:1], 0x0
	s_bfe_u32 s4, ttmp6, 0x4000c
	s_and_b32 s5, ttmp6, 15
	s_add_co_i32 s4, s4, 1
	s_getreg_b32 s6, hwreg(HW_REG_IB_STS2, 6, 4)
	s_mul_i32 s4, ttmp9, s4
	v_dual_mov_b32 v3, 0 :: v_dual_mov_b32 v4, 0
	s_add_co_i32 s5, s5, s4
	s_cmp_eq_u32 s6, 0
	s_cselect_b32 s4, ttmp9, s5
	s_wait_kmcnt 0x0
	v_mad_u32 v1, s2, s4, v0
	v_cmp_gt_i32_e64 s2, s3, v0
	s_and_saveexec_b32 s4, s2
	s_cbranch_execz .LBB9_2
; %bb.1:
	s_load_b64 s[6:7], s[0:1], 0x10
	s_wait_kmcnt 0x0
	global_load_b32 v4, v1, s[6:7] scale_offset
.LBB9_2:
	s_wait_xcnt 0x0
	s_or_b32 exec_lo, exec_lo, s4
	v_lshlrev_b32_e32 v2, 2, v0
	s_wait_loadcnt 0x0
	ds_store_b32 v2, v4
	s_and_saveexec_b32 s4, s2
	s_cbranch_execz .LBB9_4
; %bb.3:
	s_load_b64 s[6:7], s[0:1], 0x18
	s_wait_kmcnt 0x0
	global_load_b32 v3, v1, s[6:7] scale_offset
.LBB9_4:
	s_wait_xcnt 0x0
	s_or_b32 exec_lo, exec_lo, s4
	s_load_b64 s[4:5], s[0:1], 0x28
	v_dual_mov_b32 v5, 0 :: v_dual_mov_b32 v6, 0
	s_wait_loadcnt 0x0
	ds_store_b32 v2, v3 offset:16
	s_and_saveexec_b32 s6, s2
	s_cbranch_execz .LBB9_6
; %bb.5:
	s_wait_xcnt 0x0
	s_load_b64 s[0:1], s[0:1], 0x20
	s_wait_kmcnt 0x0
	global_load_b32 v6, v1, s[0:1] scale_offset
.LBB9_6:
	s_wait_xcnt 0x0
	s_or_b32 exec_lo, exec_lo, s6
	v_or_b32_e32 v4, 16, v2
	v_or_b32_e32 v3, 32, v2
	s_wait_loadcnt 0x0
	ds_store_b32 v2, v6 offset:32
	s_and_saveexec_b32 s0, s2
	s_cbranch_execz .LBB9_8
; %bb.7:
	s_wait_kmcnt 0x0
	global_load_b32 v5, v1, s[4:5] scale_offset
.LBB9_8:
	s_wait_xcnt 0x0
	s_or_b32 exec_lo, exec_lo, s0
	s_add_co_i32 s0, s3, -1
	v_sub_nc_u32_e64 v7, v0, 1 clamp
	v_add_min_i32_e64 v6, v0, 1, s0
	s_wait_loadcnt 0x0
	ds_store_b32 v2, v5 offset:64
	s_wait_dscnt 0x0
	; wave barrier
	v_dual_lshlrev_b32 v10, 2, v7 :: v_dual_lshlrev_b32 v5, 2, v6
	ds_load_b32 v16, v3
	ds_load_2addr_b32 v[6:7], v5 offset1:4
	ds_load_2addr_b32 v[8:9], v10 offset1:4
	ds_load_b32 v17, v2
	ds_load_b32 v18, v4
	ds_load_b32 v19, v2 offset:64
	s_wait_dscnt 0x4
	v_div_scale_f32 v12, null, v7, v7, v16
	s_wait_dscnt 0x2
	v_div_scale_f32 v13, null, v9, v9, v17
	v_div_scale_f32 v21, vcc_lo, v16, v7, v16
	s_delay_alu instid0(VALU_DEP_3) | instskip(NEXT) | instid1(VALU_DEP_2)
	v_rcp_f32_e32 v14, v12
	v_rcp_f32_e32 v15, v13
	v_div_scale_f32 v22, s0, v17, v9, v17
	s_delay_alu instid0(TRANS32_DEP_2) | instskip(NEXT) | instid1(TRANS32_DEP_1)
	v_fma_f32 v11, -v12, v14, 1.0
	v_fma_f32 v20, -v13, v15, 1.0
	s_delay_alu instid0(VALU_DEP_1) | instskip(SKIP_2) | instid1(VALU_DEP_1)
	v_dual_fmac_f32 v14, v11, v14 :: v_dual_fmac_f32 v15, v20, v15
	ds_load_2addr_b32 v[10:11], v10 offset0:8 offset1:16
	v_dual_mul_f32 v20, v21, v14 :: v_dual_mul_f32 v23, v22, v15
	v_dual_fma_f32 v24, -v12, v20, v21 :: v_dual_fma_f32 v25, -v13, v23, v22
	s_delay_alu instid0(VALU_DEP_1) | instskip(NEXT) | instid1(VALU_DEP_1)
	v_dual_fmac_f32 v20, v24, v14 :: v_dual_fmac_f32 v23, v25, v15
	v_dual_fma_f32 v12, -v12, v20, v21 :: v_dual_fma_f32 v13, -v13, v23, v22
	s_delay_alu instid0(VALU_DEP_1)
	v_div_fmas_f32 v20, v12, v14, v20
	s_mov_b32 vcc_lo, s0
	s_wait_dscnt 0x0
	v_mov_b32_e32 v14, v10
	v_div_fmas_f32 v21, v13, v15, v23
	ds_load_2addr_b32 v[12:13], v5 offset0:8 offset1:16
	v_mov_b32_e32 v15, v6
	v_div_fixup_f32 v7, v20, v7, v16
	s_mov_b32 s0, exec_lo
	v_div_fixup_f32 v6, v21, v9, v17
	s_wait_dscnt 0x0
	; wave barrier
	s_delay_alu instid0(VALU_DEP_1) | instskip(SKIP_1) | instid1(VALU_DEP_1)
	v_pk_mul_f32 v[14:15], v[6:7], v[14:15]
	v_dual_fma_f32 v9, -v6, v11, v19 :: v_dual_mul_f32 v6, v6, -v8
	v_dual_sub_f32 v5, v18, v14 :: v_dual_fma_f32 v9, -v7, v13, v9
	s_delay_alu instid0(VALU_DEP_1)
	v_dual_sub_f32 v5, v5, v15 :: v_dual_mul_f32 v7, v7, -v12
	ds_store_b32 v4, v5
	ds_store_b32 v2, v9 offset:64
	ds_store_b32 v2, v6
	ds_store_b32 v3, v7
	s_wait_dscnt 0x0
	; wave barrier
	v_cmpx_gt_u32_e32 2, v0
	s_cbranch_execz .LBB9_14
; %bb.9:
	v_or_b32_e32 v5, 2, v0
	v_or_b32_e32 v6, 64, v2
	s_mov_b32 s1, exec_lo
                                        ; implicit-def: $vgpr7
	s_delay_alu instid0(VALU_DEP_2)
	v_cmpx_le_i32_e64 s3, v5
	s_xor_b32 s1, exec_lo, s1
	s_cbranch_execz .LBB9_11
; %bb.10:
	ds_load_b32 v3, v6
	ds_load_b32 v4, v4
	s_wait_dscnt 0x0
	v_div_scale_f32 v5, null, v4, v4, v3
	s_delay_alu instid0(VALU_DEP_1) | instskip(SKIP_1) | instid1(TRANS32_DEP_1)
	v_rcp_f32_e32 v6, v5
	v_nop
	v_fma_f32 v7, -v5, v6, 1.0
	s_delay_alu instid0(VALU_DEP_1) | instskip(SKIP_1) | instid1(VALU_DEP_1)
	v_fmac_f32_e32 v6, v7, v6
	v_div_scale_f32 v7, vcc_lo, v3, v4, v3
	v_mul_f32_e32 v8, v7, v6
	s_delay_alu instid0(VALU_DEP_1) | instskip(NEXT) | instid1(VALU_DEP_1)
	v_fma_f32 v9, -v5, v8, v7
	v_fmac_f32_e32 v8, v9, v6
	s_delay_alu instid0(VALU_DEP_1) | instskip(NEXT) | instid1(VALU_DEP_1)
	v_fma_f32 v5, -v5, v8, v7
	v_div_fmas_f32 v5, v5, v6, v8
                                        ; implicit-def: $vgpr6
	s_delay_alu instid0(VALU_DEP_1)
	v_div_fixup_f32 v7, v5, v4, v3
                                        ; implicit-def: $vgpr4
                                        ; implicit-def: $vgpr3
                                        ; implicit-def: $vgpr5
.LBB9_11:
	s_and_not1_saveexec_b32 s1, s1
	s_cbranch_execz .LBB9_13
; %bb.12:
	ds_load_2addr_b32 v[8:9], v4 offset1:2
	ds_load_b32 v0, v2 offset:8
	ds_load_b32 v11, v3
	ds_load_2addr_b32 v[6:7], v6 offset1:2
	s_wait_dscnt 0x2
	v_dual_mov_b32 v10, v9 :: v_dual_mov_b32 v9, v0
	s_wait_dscnt 0x1
	s_delay_alu instid0(VALU_DEP_1) | instskip(NEXT) | instid1(VALU_DEP_1)
	v_pk_mul_f32 v[12:13], v[10:11], v[8:9]
	v_sub_f32_e32 v0, v12, v13
	s_delay_alu instid0(VALU_DEP_1) | instskip(NEXT) | instid1(VALU_DEP_1)
	v_div_scale_f32 v3, null, v0, v0, 1.0
	v_rcp_f32_e32 v4, v3
	v_nop
	s_delay_alu instid0(TRANS32_DEP_1) | instskip(NEXT) | instid1(VALU_DEP_1)
	v_fma_f32 v12, -v3, v4, 1.0
	v_fmac_f32_e32 v4, v12, v4
	v_div_scale_f32 v13, vcc_lo, 1.0, v0, 1.0
	s_delay_alu instid0(VALU_DEP_1) | instskip(NEXT) | instid1(VALU_DEP_1)
	v_mul_f32_e32 v14, v13, v4
	v_fma_f32 v12, -v3, v14, v13
	s_wait_dscnt 0x0
	s_delay_alu instid0(VALU_DEP_1) | instskip(NEXT) | instid1(VALU_DEP_1)
	v_dual_fmac_f32 v14, v12, v4 :: v_dual_mov_b32 v12, v7
	v_dual_fma_f32 v3, -v3, v14, v13 :: v_dual_mov_b32 v13, v6
	v_pk_mul_f32 v[6:7], v[10:11], v[6:7]
	s_delay_alu instid0(VALU_DEP_2) | instskip(NEXT) | instid1(VALU_DEP_3)
	v_div_fmas_f32 v3, v3, v4, v14
	v_pk_mul_f32 v[8:9], v[8:9], v[12:13]
	s_delay_alu instid0(VALU_DEP_3) | instskip(NEXT) | instid1(VALU_DEP_3)
	v_sub_f32_e32 v4, v6, v7
	v_div_fixup_f32 v0, v3, v0, 1.0
	s_delay_alu instid0(VALU_DEP_3) | instskip(NEXT) | instid1(VALU_DEP_1)
	v_sub_f32_e32 v3, v8, v9
	v_dual_mul_f32 v4, v0, v4 :: v_dual_mul_f32 v7, v0, v3
	v_mov_b32_e32 v0, v5
	ds_store_b32 v2, v4 offset:48
.LBB9_13:
	s_or_b32 exec_lo, exec_lo, s1
	v_lshlrev_b32_e32 v0, 2, v0
	ds_store_b32 v0, v7 offset:48
.LBB9_14:
	s_or_b32 exec_lo, exec_lo, s0
	s_wait_dscnt 0x0
	; wave barrier
	s_and_saveexec_b32 s0, s2
	s_cbranch_execz .LBB9_16
; %bb.15:
	ds_load_b32 v0, v2 offset:48
	s_wait_dscnt 0x0
	s_wait_kmcnt 0x0
	global_store_b32 v1, v0, s[4:5] scale_offset
.LBB9_16:
	s_endpgm
	.section	.rodata,"a",@progbits
	.p2align	6, 0x0
	.amdhsa_kernel _ZN9rocsparseL44gtsv_nopivot_strided_batch_pcr_shared_kernelILj4EfEEviiiPKT0_S3_S3_PS1_
		.amdhsa_group_segment_fixed_size 80
		.amdhsa_private_segment_fixed_size 0
		.amdhsa_kernarg_size 48
		.amdhsa_user_sgpr_count 2
		.amdhsa_user_sgpr_dispatch_ptr 0
		.amdhsa_user_sgpr_queue_ptr 0
		.amdhsa_user_sgpr_kernarg_segment_ptr 1
		.amdhsa_user_sgpr_dispatch_id 0
		.amdhsa_user_sgpr_kernarg_preload_length 0
		.amdhsa_user_sgpr_kernarg_preload_offset 0
		.amdhsa_user_sgpr_private_segment_size 0
		.amdhsa_wavefront_size32 1
		.amdhsa_uses_dynamic_stack 0
		.amdhsa_enable_private_segment 0
		.amdhsa_system_sgpr_workgroup_id_x 1
		.amdhsa_system_sgpr_workgroup_id_y 0
		.amdhsa_system_sgpr_workgroup_id_z 0
		.amdhsa_system_sgpr_workgroup_info 0
		.amdhsa_system_vgpr_workitem_id 0
		.amdhsa_next_free_vgpr 26
		.amdhsa_next_free_sgpr 8
		.amdhsa_named_barrier_count 0
		.amdhsa_reserve_vcc 1
		.amdhsa_float_round_mode_32 0
		.amdhsa_float_round_mode_16_64 0
		.amdhsa_float_denorm_mode_32 3
		.amdhsa_float_denorm_mode_16_64 3
		.amdhsa_fp16_overflow 0
		.amdhsa_memory_ordered 1
		.amdhsa_forward_progress 1
		.amdhsa_inst_pref_size 9
		.amdhsa_round_robin_scheduling 0
		.amdhsa_exception_fp_ieee_invalid_op 0
		.amdhsa_exception_fp_denorm_src 0
		.amdhsa_exception_fp_ieee_div_zero 0
		.amdhsa_exception_fp_ieee_overflow 0
		.amdhsa_exception_fp_ieee_underflow 0
		.amdhsa_exception_fp_ieee_inexact 0
		.amdhsa_exception_int_div_zero 0
	.end_amdhsa_kernel
	.section	.text._ZN9rocsparseL44gtsv_nopivot_strided_batch_pcr_shared_kernelILj4EfEEviiiPKT0_S3_S3_PS1_,"axG",@progbits,_ZN9rocsparseL44gtsv_nopivot_strided_batch_pcr_shared_kernelILj4EfEEviiiPKT0_S3_S3_PS1_,comdat
.Lfunc_end9:
	.size	_ZN9rocsparseL44gtsv_nopivot_strided_batch_pcr_shared_kernelILj4EfEEviiiPKT0_S3_S3_PS1_, .Lfunc_end9-_ZN9rocsparseL44gtsv_nopivot_strided_batch_pcr_shared_kernelILj4EfEEviiiPKT0_S3_S3_PS1_
                                        ; -- End function
	.set _ZN9rocsparseL44gtsv_nopivot_strided_batch_pcr_shared_kernelILj4EfEEviiiPKT0_S3_S3_PS1_.num_vgpr, 26
	.set _ZN9rocsparseL44gtsv_nopivot_strided_batch_pcr_shared_kernelILj4EfEEviiiPKT0_S3_S3_PS1_.num_agpr, 0
	.set _ZN9rocsparseL44gtsv_nopivot_strided_batch_pcr_shared_kernelILj4EfEEviiiPKT0_S3_S3_PS1_.numbered_sgpr, 8
	.set _ZN9rocsparseL44gtsv_nopivot_strided_batch_pcr_shared_kernelILj4EfEEviiiPKT0_S3_S3_PS1_.num_named_barrier, 0
	.set _ZN9rocsparseL44gtsv_nopivot_strided_batch_pcr_shared_kernelILj4EfEEviiiPKT0_S3_S3_PS1_.private_seg_size, 0
	.set _ZN9rocsparseL44gtsv_nopivot_strided_batch_pcr_shared_kernelILj4EfEEviiiPKT0_S3_S3_PS1_.uses_vcc, 1
	.set _ZN9rocsparseL44gtsv_nopivot_strided_batch_pcr_shared_kernelILj4EfEEviiiPKT0_S3_S3_PS1_.uses_flat_scratch, 0
	.set _ZN9rocsparseL44gtsv_nopivot_strided_batch_pcr_shared_kernelILj4EfEEviiiPKT0_S3_S3_PS1_.has_dyn_sized_stack, 0
	.set _ZN9rocsparseL44gtsv_nopivot_strided_batch_pcr_shared_kernelILj4EfEEviiiPKT0_S3_S3_PS1_.has_recursion, 0
	.set _ZN9rocsparseL44gtsv_nopivot_strided_batch_pcr_shared_kernelILj4EfEEviiiPKT0_S3_S3_PS1_.has_indirect_call, 0
	.section	.AMDGPU.csdata,"",@progbits
; Kernel info:
; codeLenInByte = 1148
; TotalNumSgprs: 10
; NumVgprs: 26
; ScratchSize: 0
; MemoryBound: 0
; FloatMode: 240
; IeeeMode: 1
; LDSByteSize: 80 bytes/workgroup (compile time only)
; SGPRBlocks: 0
; VGPRBlocks: 1
; NumSGPRsForWavesPerEU: 10
; NumVGPRsForWavesPerEU: 26
; NamedBarCnt: 0
; Occupancy: 16
; WaveLimiterHint : 0
; COMPUTE_PGM_RSRC2:SCRATCH_EN: 0
; COMPUTE_PGM_RSRC2:USER_SGPR: 2
; COMPUTE_PGM_RSRC2:TRAP_HANDLER: 0
; COMPUTE_PGM_RSRC2:TGID_X_EN: 1
; COMPUTE_PGM_RSRC2:TGID_Y_EN: 0
; COMPUTE_PGM_RSRC2:TGID_Z_EN: 0
; COMPUTE_PGM_RSRC2:TIDIG_COMP_CNT: 0
	.section	.text._ZN9rocsparseL44gtsv_nopivot_strided_batch_pcr_shared_kernelILj8EfEEviiiPKT0_S3_S3_PS1_,"axG",@progbits,_ZN9rocsparseL44gtsv_nopivot_strided_batch_pcr_shared_kernelILj8EfEEviiiPKT0_S3_S3_PS1_,comdat
	.globl	_ZN9rocsparseL44gtsv_nopivot_strided_batch_pcr_shared_kernelILj8EfEEviiiPKT0_S3_S3_PS1_ ; -- Begin function _ZN9rocsparseL44gtsv_nopivot_strided_batch_pcr_shared_kernelILj8EfEEviiiPKT0_S3_S3_PS1_
	.p2align	8
	.type	_ZN9rocsparseL44gtsv_nopivot_strided_batch_pcr_shared_kernelILj8EfEEviiiPKT0_S3_S3_PS1_,@function
_ZN9rocsparseL44gtsv_nopivot_strided_batch_pcr_shared_kernelILj8EfEEviiiPKT0_S3_S3_PS1_: ; @_ZN9rocsparseL44gtsv_nopivot_strided_batch_pcr_shared_kernelILj8EfEEviiiPKT0_S3_S3_PS1_
; %bb.0:
	s_clause 0x1
	s_load_b32 s2, s[0:1], 0x8
	s_load_b32 s3, s[0:1], 0x0
	s_bfe_u32 s4, ttmp6, 0x4000c
	s_and_b32 s5, ttmp6, 15
	s_add_co_i32 s4, s4, 1
	s_getreg_b32 s6, hwreg(HW_REG_IB_STS2, 6, 4)
	s_mul_i32 s4, ttmp9, s4
	v_dual_mov_b32 v3, 0 :: v_dual_mov_b32 v4, 0
	s_add_co_i32 s5, s5, s4
	s_cmp_eq_u32 s6, 0
	s_cselect_b32 s4, ttmp9, s5
	s_wait_kmcnt 0x0
	v_mad_u32 v1, s2, s4, v0
	v_cmp_gt_i32_e64 s2, s3, v0
	s_and_saveexec_b32 s4, s2
	s_cbranch_execz .LBB10_2
; %bb.1:
	s_load_b64 s[6:7], s[0:1], 0x10
	s_wait_kmcnt 0x0
	global_load_b32 v4, v1, s[6:7] scale_offset
.LBB10_2:
	s_wait_xcnt 0x0
	s_or_b32 exec_lo, exec_lo, s4
	v_lshlrev_b32_e32 v2, 2, v0
	s_wait_loadcnt 0x0
	ds_store_b32 v2, v4
	s_and_saveexec_b32 s4, s2
	s_cbranch_execz .LBB10_4
; %bb.3:
	s_load_b64 s[6:7], s[0:1], 0x18
	s_wait_kmcnt 0x0
	global_load_b32 v3, v1, s[6:7] scale_offset
.LBB10_4:
	s_wait_xcnt 0x0
	s_or_b32 exec_lo, exec_lo, s4
	s_load_b64 s[4:5], s[0:1], 0x28
	v_dual_mov_b32 v5, 0 :: v_dual_mov_b32 v6, 0
	s_wait_loadcnt 0x0
	ds_store_b32 v2, v3 offset:32
	s_and_saveexec_b32 s6, s2
	s_cbranch_execz .LBB10_6
; %bb.5:
	s_wait_xcnt 0x0
	s_load_b64 s[0:1], s[0:1], 0x20
	s_wait_kmcnt 0x0
	global_load_b32 v6, v1, s[0:1] scale_offset
.LBB10_6:
	s_wait_xcnt 0x0
	s_or_b32 exec_lo, exec_lo, s6
	v_or_b32_e32 v4, 32, v2
	v_or_b32_e32 v3, 64, v2
	s_wait_loadcnt 0x0
	ds_store_b32 v2, v6 offset:64
	s_and_saveexec_b32 s0, s2
	s_cbranch_execz .LBB10_8
; %bb.7:
	s_wait_kmcnt 0x0
	global_load_b32 v5, v1, s[4:5] scale_offset
.LBB10_8:
	s_wait_xcnt 0x0
	s_or_b32 exec_lo, exec_lo, s0
	s_add_co_i32 s1, s3, -1
	v_sub_nc_u32_e64 v6, v0, 1 clamp
	v_add_min_i32_e64 v7, v0, 1, s1
	s_wait_loadcnt 0x0
	ds_store_b32 v2, v5 offset:128
	s_wait_dscnt 0x0
	; wave barrier
	v_dual_lshlrev_b32 v5, 2, v6 :: v_dual_lshlrev_b32 v12, 2, v7
	ds_load_b32 v14, v2
	ds_load_2addr_b32 v[6:7], v5 offset1:8
	ds_load_2addr_b32 v[8:9], v12 offset1:8
	ds_load_b32 v15, v3
	ds_load_b32 v16, v4
	ds_load_b32 v17, v2 offset:128
	s_wait_dscnt 0x4
	v_div_scale_f32 v13, null, v7, v7, v14
	s_wait_dscnt 0x2
	v_div_scale_f32 v18, null, v9, v9, v15
	v_div_scale_f32 v21, vcc_lo, v14, v7, v14
	s_delay_alu instid0(VALU_DEP_3) | instskip(NEXT) | instid1(VALU_DEP_2)
	v_rcp_f32_e32 v19, v13
	v_rcp_f32_e32 v20, v18
	v_div_scale_f32 v22, s0, v15, v9, v15
	s_delay_alu instid0(TRANS32_DEP_2) | instskip(NEXT) | instid1(TRANS32_DEP_1)
	v_fma_f32 v10, -v13, v19, 1.0
	v_fma_f32 v11, -v18, v20, 1.0
	s_delay_alu instid0(VALU_DEP_1) | instskip(SKIP_2) | instid1(VALU_DEP_1)
	v_dual_fmac_f32 v19, v10, v19 :: v_dual_fmac_f32 v20, v11, v20
	ds_load_2addr_b32 v[10:11], v5 offset0:16 offset1:32
	v_dual_mul_f32 v23, v21, v19 :: v_dual_mul_f32 v24, v22, v20
	v_dual_fma_f32 v25, -v13, v23, v21 :: v_dual_fma_f32 v26, -v18, v24, v22
	s_delay_alu instid0(VALU_DEP_1) | instskip(NEXT) | instid1(VALU_DEP_1)
	v_dual_fmac_f32 v23, v25, v19 :: v_dual_fmac_f32 v24, v26, v20
	v_dual_fma_f32 v5, -v13, v23, v21 :: v_dual_fma_f32 v18, -v18, v24, v22
	ds_load_2addr_b32 v[12:13], v12 offset0:16 offset1:32
	s_wait_dscnt 0x0
	; wave barrier
	v_div_fmas_f32 v5, v5, v19, v23
	s_mov_b32 vcc_lo, s0
	v_div_fmas_f32 v18, v18, v20, v24
	s_delay_alu instid0(VALU_DEP_2) | instskip(SKIP_2) | instid1(VALU_DEP_4)
	v_div_fixup_f32 v5, v5, v7, v14
	v_sub_nc_u32_e64 v7, v0, 2 clamp
	v_add_min_i32_e64 v14, v0, 2, s1
	v_div_fixup_f32 v9, v18, v9, v15
	s_delay_alu instid0(VALU_DEP_4) | instskip(NEXT) | instid1(VALU_DEP_3)
	v_dual_fma_f32 v10, -v5, v10, v16 :: v_dual_fma_f32 v11, -v5, v11, v17
	v_dual_lshlrev_b32 v15, 2, v7 :: v_dual_lshlrev_b32 v14, 2, v14
	v_mul_f32_e64 v5, v5, -v6
	s_delay_alu instid0(VALU_DEP_3)
	v_dual_fma_f32 v7, -v9, v8, v10 :: v_dual_fma_f32 v8, -v9, v13, v11
	v_mul_f32_e64 v6, v9, -v12
	ds_store_b32 v4, v7
	ds_store_b32 v2, v8 offset:128
	ds_store_b32 v2, v5
	ds_store_b32 v3, v6
	s_wait_dscnt 0x0
	; wave barrier
	ds_load_b32 v5, v2
	ds_load_2addr_b32 v[6:7], v15 offset1:8
	ds_load_2addr_b32 v[8:9], v14 offset1:8
	ds_load_b32 v16, v3
	ds_load_b32 v17, v4
	ds_load_b32 v18, v2 offset:128
	s_wait_dscnt 0x4
	v_div_scale_f32 v12, null, v7, v7, v5
	s_wait_dscnt 0x2
	v_div_scale_f32 v19, null, v9, v9, v16
	v_div_scale_f32 v13, vcc_lo, v5, v7, v5
	s_delay_alu instid0(VALU_DEP_3) | instskip(NEXT) | instid1(VALU_DEP_2)
	v_rcp_f32_e32 v20, v12
	v_rcp_f32_e32 v21, v19
	v_div_scale_f32 v22, s0, v16, v9, v16
	s_delay_alu instid0(TRANS32_DEP_2) | instskip(NEXT) | instid1(TRANS32_DEP_1)
	v_fma_f32 v10, -v12, v20, 1.0
	v_fma_f32 v11, -v19, v21, 1.0
	s_delay_alu instid0(VALU_DEP_1) | instskip(SKIP_2) | instid1(VALU_DEP_1)
	v_dual_fmac_f32 v20, v10, v20 :: v_dual_fmac_f32 v21, v11, v21
	ds_load_2addr_b32 v[10:11], v15 offset0:16 offset1:32
	v_dual_mul_f32 v23, v13, v20 :: v_dual_mul_f32 v24, v22, v21
	v_dual_fma_f32 v25, -v12, v23, v13 :: v_dual_fma_f32 v26, -v19, v24, v22
	s_delay_alu instid0(VALU_DEP_1) | instskip(NEXT) | instid1(VALU_DEP_1)
	v_dual_fmac_f32 v23, v25, v20 :: v_dual_fmac_f32 v24, v26, v21
	v_fma_f32 v15, -v12, v23, v13
	ds_load_2addr_b32 v[12:13], v14 offset0:16 offset1:32
	v_fma_f32 v14, -v19, v24, v22
	s_wait_dscnt 0x0
	; wave barrier
	v_div_fmas_f32 v15, v15, v20, v23
	s_mov_b32 vcc_lo, s0
	s_mov_b32 s0, exec_lo
	v_div_fmas_f32 v14, v14, v21, v24
	s_delay_alu instid0(VALU_DEP_2) | instskip(NEXT) | instid1(VALU_DEP_2)
	v_div_fixup_f32 v5, v15, v7, v5
	v_div_fixup_f32 v7, v14, v9, v16
	s_delay_alu instid0(VALU_DEP_2) | instskip(NEXT) | instid1(VALU_DEP_1)
	v_dual_fma_f32 v9, -v5, v10, v17 :: v_dual_fma_f32 v10, -v5, v11, v18
	v_dual_mul_f32 v5, v5, -v6 :: v_dual_fma_f32 v8, -v7, v8, v9
	s_delay_alu instid0(VALU_DEP_2)
	v_dual_fma_f32 v9, -v7, v13, v10 :: v_dual_mul_f32 v6, v7, -v12
	ds_store_b32 v4, v8
	ds_store_b32 v2, v9 offset:128
	ds_store_b32 v2, v5
	ds_store_b32 v3, v6
	s_wait_dscnt 0x0
	; wave barrier
	v_cmpx_gt_u32_e32 4, v0
	s_cbranch_execz .LBB10_14
; %bb.9:
	v_or_b32_e32 v5, 4, v0
	v_or_b32_e32 v6, 0x80, v2
	s_mov_b32 s1, exec_lo
                                        ; implicit-def: $vgpr7
	s_delay_alu instid0(VALU_DEP_2)
	v_cmpx_le_i32_e64 s3, v5
	s_xor_b32 s1, exec_lo, s1
	s_cbranch_execz .LBB10_11
; %bb.10:
	ds_load_b32 v3, v6
	ds_load_b32 v4, v4
	s_wait_dscnt 0x0
	v_div_scale_f32 v5, null, v4, v4, v3
	s_delay_alu instid0(VALU_DEP_1) | instskip(SKIP_1) | instid1(TRANS32_DEP_1)
	v_rcp_f32_e32 v6, v5
	v_nop
	v_fma_f32 v7, -v5, v6, 1.0
	s_delay_alu instid0(VALU_DEP_1) | instskip(SKIP_1) | instid1(VALU_DEP_1)
	v_fmac_f32_e32 v6, v7, v6
	v_div_scale_f32 v7, vcc_lo, v3, v4, v3
	v_mul_f32_e32 v8, v7, v6
	s_delay_alu instid0(VALU_DEP_1) | instskip(NEXT) | instid1(VALU_DEP_1)
	v_fma_f32 v9, -v5, v8, v7
	v_fmac_f32_e32 v8, v9, v6
	s_delay_alu instid0(VALU_DEP_1) | instskip(NEXT) | instid1(VALU_DEP_1)
	v_fma_f32 v5, -v5, v8, v7
	v_div_fmas_f32 v5, v5, v6, v8
                                        ; implicit-def: $vgpr6
	s_delay_alu instid0(VALU_DEP_1)
	v_div_fixup_f32 v7, v5, v4, v3
                                        ; implicit-def: $vgpr4
                                        ; implicit-def: $vgpr3
                                        ; implicit-def: $vgpr5
.LBB10_11:
	s_and_not1_saveexec_b32 s1, s1
	s_cbranch_execz .LBB10_13
; %bb.12:
	ds_load_2addr_b32 v[8:9], v4 offset1:4
	ds_load_b32 v0, v2 offset:16
	ds_load_b32 v11, v3
	ds_load_2addr_b32 v[6:7], v6 offset1:4
	s_wait_dscnt 0x2
	v_dual_mov_b32 v10, v9 :: v_dual_mov_b32 v9, v0
	s_wait_dscnt 0x1
	s_delay_alu instid0(VALU_DEP_1) | instskip(NEXT) | instid1(VALU_DEP_1)
	v_pk_mul_f32 v[12:13], v[10:11], v[8:9]
	v_sub_f32_e32 v0, v12, v13
	s_delay_alu instid0(VALU_DEP_1) | instskip(NEXT) | instid1(VALU_DEP_1)
	v_div_scale_f32 v3, null, v0, v0, 1.0
	v_rcp_f32_e32 v4, v3
	v_nop
	s_delay_alu instid0(TRANS32_DEP_1) | instskip(NEXT) | instid1(VALU_DEP_1)
	v_fma_f32 v12, -v3, v4, 1.0
	v_fmac_f32_e32 v4, v12, v4
	v_div_scale_f32 v13, vcc_lo, 1.0, v0, 1.0
	s_delay_alu instid0(VALU_DEP_1) | instskip(NEXT) | instid1(VALU_DEP_1)
	v_mul_f32_e32 v14, v13, v4
	v_fma_f32 v12, -v3, v14, v13
	s_wait_dscnt 0x0
	s_delay_alu instid0(VALU_DEP_1) | instskip(NEXT) | instid1(VALU_DEP_1)
	v_dual_fmac_f32 v14, v12, v4 :: v_dual_mov_b32 v12, v7
	v_dual_fma_f32 v3, -v3, v14, v13 :: v_dual_mov_b32 v13, v6
	v_pk_mul_f32 v[6:7], v[10:11], v[6:7]
	s_delay_alu instid0(VALU_DEP_2) | instskip(NEXT) | instid1(VALU_DEP_3)
	v_div_fmas_f32 v3, v3, v4, v14
	v_pk_mul_f32 v[8:9], v[8:9], v[12:13]
	s_delay_alu instid0(VALU_DEP_3) | instskip(NEXT) | instid1(VALU_DEP_3)
	v_sub_f32_e32 v4, v6, v7
	v_div_fixup_f32 v0, v3, v0, 1.0
	s_delay_alu instid0(VALU_DEP_3) | instskip(NEXT) | instid1(VALU_DEP_1)
	v_sub_f32_e32 v3, v8, v9
	v_dual_mul_f32 v4, v0, v4 :: v_dual_mul_f32 v7, v0, v3
	v_mov_b32_e32 v0, v5
	ds_store_b32 v2, v4 offset:96
.LBB10_13:
	s_or_b32 exec_lo, exec_lo, s1
	v_lshlrev_b32_e32 v0, 2, v0
	ds_store_b32 v0, v7 offset:96
.LBB10_14:
	s_or_b32 exec_lo, exec_lo, s0
	s_wait_dscnt 0x0
	; wave barrier
	s_and_saveexec_b32 s0, s2
	s_cbranch_execz .LBB10_16
; %bb.15:
	ds_load_b32 v0, v2 offset:96
	s_wait_dscnt 0x0
	s_wait_kmcnt 0x0
	global_store_b32 v1, v0, s[4:5] scale_offset
.LBB10_16:
	s_endpgm
	.section	.rodata,"a",@progbits
	.p2align	6, 0x0
	.amdhsa_kernel _ZN9rocsparseL44gtsv_nopivot_strided_batch_pcr_shared_kernelILj8EfEEviiiPKT0_S3_S3_PS1_
		.amdhsa_group_segment_fixed_size 160
		.amdhsa_private_segment_fixed_size 0
		.amdhsa_kernarg_size 48
		.amdhsa_user_sgpr_count 2
		.amdhsa_user_sgpr_dispatch_ptr 0
		.amdhsa_user_sgpr_queue_ptr 0
		.amdhsa_user_sgpr_kernarg_segment_ptr 1
		.amdhsa_user_sgpr_dispatch_id 0
		.amdhsa_user_sgpr_kernarg_preload_length 0
		.amdhsa_user_sgpr_kernarg_preload_offset 0
		.amdhsa_user_sgpr_private_segment_size 0
		.amdhsa_wavefront_size32 1
		.amdhsa_uses_dynamic_stack 0
		.amdhsa_enable_private_segment 0
		.amdhsa_system_sgpr_workgroup_id_x 1
		.amdhsa_system_sgpr_workgroup_id_y 0
		.amdhsa_system_sgpr_workgroup_id_z 0
		.amdhsa_system_sgpr_workgroup_info 0
		.amdhsa_system_vgpr_workitem_id 0
		.amdhsa_next_free_vgpr 27
		.amdhsa_next_free_sgpr 8
		.amdhsa_named_barrier_count 0
		.amdhsa_reserve_vcc 1
		.amdhsa_float_round_mode_32 0
		.amdhsa_float_round_mode_16_64 0
		.amdhsa_float_denorm_mode_32 3
		.amdhsa_float_denorm_mode_16_64 3
		.amdhsa_fp16_overflow 0
		.amdhsa_memory_ordered 1
		.amdhsa_forward_progress 1
		.amdhsa_inst_pref_size 12
		.amdhsa_round_robin_scheduling 0
		.amdhsa_exception_fp_ieee_invalid_op 0
		.amdhsa_exception_fp_denorm_src 0
		.amdhsa_exception_fp_ieee_div_zero 0
		.amdhsa_exception_fp_ieee_overflow 0
		.amdhsa_exception_fp_ieee_underflow 0
		.amdhsa_exception_fp_ieee_inexact 0
		.amdhsa_exception_int_div_zero 0
	.end_amdhsa_kernel
	.section	.text._ZN9rocsparseL44gtsv_nopivot_strided_batch_pcr_shared_kernelILj8EfEEviiiPKT0_S3_S3_PS1_,"axG",@progbits,_ZN9rocsparseL44gtsv_nopivot_strided_batch_pcr_shared_kernelILj8EfEEviiiPKT0_S3_S3_PS1_,comdat
.Lfunc_end10:
	.size	_ZN9rocsparseL44gtsv_nopivot_strided_batch_pcr_shared_kernelILj8EfEEviiiPKT0_S3_S3_PS1_, .Lfunc_end10-_ZN9rocsparseL44gtsv_nopivot_strided_batch_pcr_shared_kernelILj8EfEEviiiPKT0_S3_S3_PS1_
                                        ; -- End function
	.set _ZN9rocsparseL44gtsv_nopivot_strided_batch_pcr_shared_kernelILj8EfEEviiiPKT0_S3_S3_PS1_.num_vgpr, 27
	.set _ZN9rocsparseL44gtsv_nopivot_strided_batch_pcr_shared_kernelILj8EfEEviiiPKT0_S3_S3_PS1_.num_agpr, 0
	.set _ZN9rocsparseL44gtsv_nopivot_strided_batch_pcr_shared_kernelILj8EfEEviiiPKT0_S3_S3_PS1_.numbered_sgpr, 8
	.set _ZN9rocsparseL44gtsv_nopivot_strided_batch_pcr_shared_kernelILj8EfEEviiiPKT0_S3_S3_PS1_.num_named_barrier, 0
	.set _ZN9rocsparseL44gtsv_nopivot_strided_batch_pcr_shared_kernelILj8EfEEviiiPKT0_S3_S3_PS1_.private_seg_size, 0
	.set _ZN9rocsparseL44gtsv_nopivot_strided_batch_pcr_shared_kernelILj8EfEEviiiPKT0_S3_S3_PS1_.uses_vcc, 1
	.set _ZN9rocsparseL44gtsv_nopivot_strided_batch_pcr_shared_kernelILj8EfEEviiiPKT0_S3_S3_PS1_.uses_flat_scratch, 0
	.set _ZN9rocsparseL44gtsv_nopivot_strided_batch_pcr_shared_kernelILj8EfEEviiiPKT0_S3_S3_PS1_.has_dyn_sized_stack, 0
	.set _ZN9rocsparseL44gtsv_nopivot_strided_batch_pcr_shared_kernelILj8EfEEviiiPKT0_S3_S3_PS1_.has_recursion, 0
	.set _ZN9rocsparseL44gtsv_nopivot_strided_batch_pcr_shared_kernelILj8EfEEviiiPKT0_S3_S3_PS1_.has_indirect_call, 0
	.section	.AMDGPU.csdata,"",@progbits
; Kernel info:
; codeLenInByte = 1484
; TotalNumSgprs: 10
; NumVgprs: 27
; ScratchSize: 0
; MemoryBound: 0
; FloatMode: 240
; IeeeMode: 1
; LDSByteSize: 160 bytes/workgroup (compile time only)
; SGPRBlocks: 0
; VGPRBlocks: 1
; NumSGPRsForWavesPerEU: 10
; NumVGPRsForWavesPerEU: 27
; NamedBarCnt: 0
; Occupancy: 16
; WaveLimiterHint : 0
; COMPUTE_PGM_RSRC2:SCRATCH_EN: 0
; COMPUTE_PGM_RSRC2:USER_SGPR: 2
; COMPUTE_PGM_RSRC2:TRAP_HANDLER: 0
; COMPUTE_PGM_RSRC2:TGID_X_EN: 1
; COMPUTE_PGM_RSRC2:TGID_Y_EN: 0
; COMPUTE_PGM_RSRC2:TGID_Z_EN: 0
; COMPUTE_PGM_RSRC2:TIDIG_COMP_CNT: 0
	.section	.text._ZN9rocsparseL44gtsv_nopivot_strided_batch_pcr_shared_kernelILj16EfEEviiiPKT0_S3_S3_PS1_,"axG",@progbits,_ZN9rocsparseL44gtsv_nopivot_strided_batch_pcr_shared_kernelILj16EfEEviiiPKT0_S3_S3_PS1_,comdat
	.globl	_ZN9rocsparseL44gtsv_nopivot_strided_batch_pcr_shared_kernelILj16EfEEviiiPKT0_S3_S3_PS1_ ; -- Begin function _ZN9rocsparseL44gtsv_nopivot_strided_batch_pcr_shared_kernelILj16EfEEviiiPKT0_S3_S3_PS1_
	.p2align	8
	.type	_ZN9rocsparseL44gtsv_nopivot_strided_batch_pcr_shared_kernelILj16EfEEviiiPKT0_S3_S3_PS1_,@function
_ZN9rocsparseL44gtsv_nopivot_strided_batch_pcr_shared_kernelILj16EfEEviiiPKT0_S3_S3_PS1_: ; @_ZN9rocsparseL44gtsv_nopivot_strided_batch_pcr_shared_kernelILj16EfEEviiiPKT0_S3_S3_PS1_
; %bb.0:
	s_clause 0x1
	s_load_b32 s2, s[0:1], 0x8
	s_load_b32 s3, s[0:1], 0x0
	s_bfe_u32 s4, ttmp6, 0x4000c
	s_and_b32 s5, ttmp6, 15
	s_add_co_i32 s4, s4, 1
	s_getreg_b32 s6, hwreg(HW_REG_IB_STS2, 6, 4)
	s_mul_i32 s4, ttmp9, s4
	v_dual_mov_b32 v3, 0 :: v_dual_mov_b32 v4, 0
	s_add_co_i32 s5, s5, s4
	s_cmp_eq_u32 s6, 0
	s_cselect_b32 s4, ttmp9, s5
	s_wait_kmcnt 0x0
	v_mad_u32 v1, s2, s4, v0
	v_cmp_gt_i32_e64 s2, s3, v0
	s_and_saveexec_b32 s4, s2
	s_cbranch_execz .LBB11_2
; %bb.1:
	s_load_b64 s[6:7], s[0:1], 0x10
	s_wait_kmcnt 0x0
	global_load_b32 v4, v1, s[6:7] scale_offset
.LBB11_2:
	s_wait_xcnt 0x0
	s_or_b32 exec_lo, exec_lo, s4
	v_lshlrev_b32_e32 v2, 2, v0
	s_wait_loadcnt 0x0
	ds_store_b32 v2, v4
	s_and_saveexec_b32 s4, s2
	s_cbranch_execz .LBB11_4
; %bb.3:
	s_load_b64 s[6:7], s[0:1], 0x18
	s_wait_kmcnt 0x0
	global_load_b32 v3, v1, s[6:7] scale_offset
.LBB11_4:
	s_wait_xcnt 0x0
	s_or_b32 exec_lo, exec_lo, s4
	s_load_b64 s[4:5], s[0:1], 0x28
	v_dual_mov_b32 v5, 0 :: v_dual_mov_b32 v6, 0
	s_wait_loadcnt 0x0
	ds_store_b32 v2, v3 offset:64
	s_and_saveexec_b32 s6, s2
	s_cbranch_execz .LBB11_6
; %bb.5:
	s_wait_xcnt 0x0
	s_load_b64 s[0:1], s[0:1], 0x20
	s_wait_kmcnt 0x0
	global_load_b32 v6, v1, s[0:1] scale_offset
.LBB11_6:
	s_wait_xcnt 0x0
	s_or_b32 exec_lo, exec_lo, s6
	v_or_b32_e32 v4, 64, v2
	v_or_b32_e32 v3, 0x80, v2
	s_wait_loadcnt 0x0
	ds_store_b32 v2, v6 offset:128
	s_and_saveexec_b32 s0, s2
	s_cbranch_execz .LBB11_8
; %bb.7:
	s_wait_kmcnt 0x0
	global_load_b32 v5, v1, s[4:5] scale_offset
.LBB11_8:
	s_wait_xcnt 0x0
	s_or_b32 exec_lo, exec_lo, s0
	s_add_co_i32 s1, s3, -1
	v_sub_nc_u32_e64 v6, v0, 1 clamp
	v_add_min_i32_e64 v7, v0, 1, s1
	s_wait_loadcnt 0x0
	ds_store_b32 v2, v5 offset:256
	s_wait_dscnt 0x0
	; wave barrier
	v_dual_lshlrev_b32 v5, 2, v6 :: v_dual_lshlrev_b32 v12, 2, v7
	ds_load_b32 v14, v2
	ds_load_2addr_b32 v[6:7], v5 offset1:16
	ds_load_2addr_b32 v[8:9], v12 offset1:16
	ds_load_b32 v15, v3
	ds_load_b32 v16, v4
	ds_load_b32 v17, v2 offset:256
	s_wait_dscnt 0x4
	v_div_scale_f32 v13, null, v7, v7, v14
	s_wait_dscnt 0x2
	v_div_scale_f32 v18, null, v9, v9, v15
	v_div_scale_f32 v21, vcc_lo, v14, v7, v14
	s_delay_alu instid0(VALU_DEP_3) | instskip(NEXT) | instid1(VALU_DEP_2)
	v_rcp_f32_e32 v19, v13
	v_rcp_f32_e32 v20, v18
	v_div_scale_f32 v22, s0, v15, v9, v15
	s_delay_alu instid0(TRANS32_DEP_2) | instskip(NEXT) | instid1(TRANS32_DEP_1)
	v_fma_f32 v10, -v13, v19, 1.0
	v_fma_f32 v11, -v18, v20, 1.0
	s_delay_alu instid0(VALU_DEP_1) | instskip(SKIP_2) | instid1(VALU_DEP_1)
	v_dual_fmac_f32 v19, v10, v19 :: v_dual_fmac_f32 v20, v11, v20
	ds_load_2addr_b32 v[10:11], v5 offset0:32 offset1:64
	v_dual_mul_f32 v23, v21, v19 :: v_dual_mul_f32 v24, v22, v20
	v_dual_fma_f32 v25, -v13, v23, v21 :: v_dual_fma_f32 v26, -v18, v24, v22
	s_delay_alu instid0(VALU_DEP_1) | instskip(NEXT) | instid1(VALU_DEP_1)
	v_dual_fmac_f32 v23, v25, v19 :: v_dual_fmac_f32 v24, v26, v20
	v_dual_fma_f32 v5, -v13, v23, v21 :: v_dual_fma_f32 v18, -v18, v24, v22
	ds_load_2addr_b32 v[12:13], v12 offset0:32 offset1:64
	s_wait_dscnt 0x0
	; wave barrier
	v_div_fmas_f32 v5, v5, v19, v23
	s_mov_b32 vcc_lo, s0
	v_div_fmas_f32 v18, v18, v20, v24
	s_delay_alu instid0(VALU_DEP_2) | instskip(SKIP_2) | instid1(VALU_DEP_4)
	v_div_fixup_f32 v5, v5, v7, v14
	v_sub_nc_u32_e64 v7, v0, 2 clamp
	v_add_min_i32_e64 v14, v0, 2, s1
	v_div_fixup_f32 v9, v18, v9, v15
	s_delay_alu instid0(VALU_DEP_4) | instskip(NEXT) | instid1(VALU_DEP_3)
	v_dual_fma_f32 v10, -v5, v10, v16 :: v_dual_fma_f32 v11, -v5, v11, v17
	v_dual_lshlrev_b32 v15, 2, v7 :: v_dual_lshlrev_b32 v14, 2, v14
	v_mul_f32_e64 v5, v5, -v6
	s_delay_alu instid0(VALU_DEP_3)
	v_dual_fma_f32 v7, -v9, v8, v10 :: v_dual_fma_f32 v8, -v9, v13, v11
	v_mul_f32_e64 v6, v9, -v12
	ds_store_b32 v4, v7
	ds_store_b32 v2, v8 offset:256
	ds_store_b32 v2, v5
	ds_store_b32 v3, v6
	s_wait_dscnt 0x0
	; wave barrier
	ds_load_b32 v5, v2
	ds_load_2addr_b32 v[6:7], v15 offset1:16
	ds_load_2addr_b32 v[8:9], v14 offset1:16
	ds_load_b32 v16, v3
	ds_load_b32 v17, v4
	ds_load_b32 v18, v2 offset:256
	s_wait_dscnt 0x4
	v_div_scale_f32 v12, null, v7, v7, v5
	s_wait_dscnt 0x2
	v_div_scale_f32 v19, null, v9, v9, v16
	v_div_scale_f32 v13, vcc_lo, v5, v7, v5
	s_delay_alu instid0(VALU_DEP_3) | instskip(NEXT) | instid1(VALU_DEP_2)
	v_rcp_f32_e32 v20, v12
	v_rcp_f32_e32 v21, v19
	v_div_scale_f32 v22, s0, v16, v9, v16
	s_delay_alu instid0(TRANS32_DEP_2) | instskip(NEXT) | instid1(TRANS32_DEP_1)
	v_fma_f32 v10, -v12, v20, 1.0
	v_fma_f32 v11, -v19, v21, 1.0
	s_delay_alu instid0(VALU_DEP_1) | instskip(SKIP_2) | instid1(VALU_DEP_1)
	v_dual_fmac_f32 v20, v10, v20 :: v_dual_fmac_f32 v21, v11, v21
	ds_load_2addr_b32 v[10:11], v15 offset0:32 offset1:64
	v_dual_mul_f32 v23, v13, v20 :: v_dual_mul_f32 v24, v22, v21
	v_dual_fma_f32 v25, -v12, v23, v13 :: v_dual_fma_f32 v26, -v19, v24, v22
	s_delay_alu instid0(VALU_DEP_1) | instskip(NEXT) | instid1(VALU_DEP_1)
	v_dual_fmac_f32 v23, v25, v20 :: v_dual_fmac_f32 v24, v26, v21
	v_fma_f32 v15, -v12, v23, v13
	ds_load_2addr_b32 v[12:13], v14 offset0:32 offset1:64
	v_fma_f32 v14, -v19, v24, v22
	s_wait_dscnt 0x0
	; wave barrier
	v_div_fmas_f32 v15, v15, v20, v23
	s_mov_b32 vcc_lo, s0
	s_delay_alu instid0(VALU_DEP_2) | instskip(NEXT) | instid1(VALU_DEP_2)
	v_div_fmas_f32 v14, v14, v21, v24
	v_div_fixup_f32 v5, v15, v7, v5
	v_sub_nc_u32_e64 v7, v0, 4 clamp
	v_add_min_i32_e64 v15, v0, 4, s1
	s_delay_alu instid0(VALU_DEP_4) | instskip(NEXT) | instid1(VALU_DEP_4)
	v_div_fixup_f32 v9, v14, v9, v16
	v_dual_fma_f32 v10, -v5, v10, v17 :: v_dual_fma_f32 v11, -v5, v11, v18
	s_delay_alu instid0(VALU_DEP_4) | instskip(NEXT) | instid1(VALU_DEP_4)
	v_lshlrev_b32_e32 v14, 2, v7
	v_dual_lshlrev_b32 v15, 2, v15 :: v_dual_mul_f32 v5, v5, -v6
	s_delay_alu instid0(VALU_DEP_3)
	v_dual_fma_f32 v7, -v9, v8, v10 :: v_dual_fma_f32 v8, -v9, v13, v11
	v_mul_f32_e64 v6, v9, -v12
	ds_store_b32 v4, v7
	ds_store_b32 v2, v8 offset:256
	ds_store_b32 v2, v5
	ds_store_b32 v3, v6
	s_wait_dscnt 0x0
	; wave barrier
	ds_load_b32 v5, v2
	ds_load_2addr_b32 v[6:7], v14 offset1:16
	ds_load_2addr_b32 v[8:9], v15 offset1:16
	ds_load_b32 v16, v3
	ds_load_b32 v17, v4
	ds_load_b32 v18, v2 offset:256
	s_wait_dscnt 0x4
	v_div_scale_f32 v12, null, v7, v7, v5
	s_wait_dscnt 0x2
	v_div_scale_f32 v19, null, v9, v9, v16
	v_div_scale_f32 v13, vcc_lo, v5, v7, v5
	s_delay_alu instid0(VALU_DEP_3) | instskip(NEXT) | instid1(VALU_DEP_2)
	v_rcp_f32_e32 v20, v12
	v_rcp_f32_e32 v21, v19
	v_div_scale_f32 v22, s0, v16, v9, v16
	s_delay_alu instid0(TRANS32_DEP_2) | instskip(NEXT) | instid1(TRANS32_DEP_1)
	v_fma_f32 v10, -v12, v20, 1.0
	v_fma_f32 v11, -v19, v21, 1.0
	s_delay_alu instid0(VALU_DEP_1) | instskip(SKIP_2) | instid1(VALU_DEP_1)
	v_dual_fmac_f32 v20, v10, v20 :: v_dual_fmac_f32 v21, v11, v21
	ds_load_2addr_b32 v[10:11], v14 offset0:32 offset1:64
	v_dual_mul_f32 v23, v13, v20 :: v_dual_mul_f32 v24, v22, v21
	v_dual_fma_f32 v25, -v12, v23, v13 :: v_dual_fma_f32 v26, -v19, v24, v22
	s_delay_alu instid0(VALU_DEP_1) | instskip(NEXT) | instid1(VALU_DEP_1)
	v_dual_fmac_f32 v23, v25, v20 :: v_dual_fmac_f32 v24, v26, v21
	v_fma_f32 v14, -v12, v23, v13
	ds_load_2addr_b32 v[12:13], v15 offset0:32 offset1:64
	v_fma_f32 v15, -v19, v24, v22
	s_wait_dscnt 0x0
	; wave barrier
	v_div_fmas_f32 v14, v14, v20, v23
	s_mov_b32 vcc_lo, s0
	s_mov_b32 s0, exec_lo
	v_div_fmas_f32 v15, v15, v21, v24
	s_delay_alu instid0(VALU_DEP_2) | instskip(NEXT) | instid1(VALU_DEP_2)
	v_div_fixup_f32 v5, v14, v7, v5
	v_div_fixup_f32 v7, v15, v9, v16
	s_delay_alu instid0(VALU_DEP_2) | instskip(NEXT) | instid1(VALU_DEP_1)
	v_dual_fma_f32 v9, -v5, v10, v17 :: v_dual_fma_f32 v10, -v5, v11, v18
	v_dual_mul_f32 v5, v5, -v6 :: v_dual_fma_f32 v8, -v7, v8, v9
	s_delay_alu instid0(VALU_DEP_2)
	v_dual_fma_f32 v9, -v7, v13, v10 :: v_dual_mul_f32 v6, v7, -v12
	ds_store_b32 v4, v8
	ds_store_b32 v2, v9 offset:256
	ds_store_b32 v2, v5
	ds_store_b32 v3, v6
	s_wait_dscnt 0x0
	; wave barrier
	v_cmpx_gt_u32_e32 8, v0
	s_cbranch_execz .LBB11_14
; %bb.9:
	v_or_b32_e32 v5, 8, v0
	v_or_b32_e32 v6, 0x100, v2
	s_mov_b32 s1, exec_lo
                                        ; implicit-def: $vgpr7
	s_delay_alu instid0(VALU_DEP_2)
	v_cmpx_le_i32_e64 s3, v5
	s_xor_b32 s1, exec_lo, s1
	s_cbranch_execz .LBB11_11
; %bb.10:
	ds_load_b32 v3, v6
	ds_load_b32 v4, v4
	s_wait_dscnt 0x0
	v_div_scale_f32 v5, null, v4, v4, v3
	s_delay_alu instid0(VALU_DEP_1) | instskip(SKIP_1) | instid1(TRANS32_DEP_1)
	v_rcp_f32_e32 v6, v5
	v_nop
	v_fma_f32 v7, -v5, v6, 1.0
	s_delay_alu instid0(VALU_DEP_1) | instskip(SKIP_1) | instid1(VALU_DEP_1)
	v_fmac_f32_e32 v6, v7, v6
	v_div_scale_f32 v7, vcc_lo, v3, v4, v3
	v_mul_f32_e32 v8, v7, v6
	s_delay_alu instid0(VALU_DEP_1) | instskip(NEXT) | instid1(VALU_DEP_1)
	v_fma_f32 v9, -v5, v8, v7
	v_fmac_f32_e32 v8, v9, v6
	s_delay_alu instid0(VALU_DEP_1) | instskip(NEXT) | instid1(VALU_DEP_1)
	v_fma_f32 v5, -v5, v8, v7
	v_div_fmas_f32 v5, v5, v6, v8
                                        ; implicit-def: $vgpr6
	s_delay_alu instid0(VALU_DEP_1)
	v_div_fixup_f32 v7, v5, v4, v3
                                        ; implicit-def: $vgpr4
                                        ; implicit-def: $vgpr3
                                        ; implicit-def: $vgpr5
.LBB11_11:
	s_and_not1_saveexec_b32 s1, s1
	s_cbranch_execz .LBB11_13
; %bb.12:
	ds_load_2addr_b32 v[8:9], v4 offset1:8
	ds_load_b32 v0, v2 offset:32
	ds_load_b32 v11, v3
	ds_load_2addr_b32 v[6:7], v6 offset1:8
	s_wait_dscnt 0x2
	v_dual_mov_b32 v10, v9 :: v_dual_mov_b32 v9, v0
	s_wait_dscnt 0x1
	s_delay_alu instid0(VALU_DEP_1) | instskip(NEXT) | instid1(VALU_DEP_1)
	v_pk_mul_f32 v[12:13], v[10:11], v[8:9]
	v_sub_f32_e32 v0, v12, v13
	s_delay_alu instid0(VALU_DEP_1) | instskip(NEXT) | instid1(VALU_DEP_1)
	v_div_scale_f32 v3, null, v0, v0, 1.0
	v_rcp_f32_e32 v4, v3
	v_nop
	s_delay_alu instid0(TRANS32_DEP_1) | instskip(NEXT) | instid1(VALU_DEP_1)
	v_fma_f32 v12, -v3, v4, 1.0
	v_fmac_f32_e32 v4, v12, v4
	v_div_scale_f32 v13, vcc_lo, 1.0, v0, 1.0
	s_delay_alu instid0(VALU_DEP_1) | instskip(NEXT) | instid1(VALU_DEP_1)
	v_mul_f32_e32 v14, v13, v4
	v_fma_f32 v12, -v3, v14, v13
	s_wait_dscnt 0x0
	s_delay_alu instid0(VALU_DEP_1) | instskip(NEXT) | instid1(VALU_DEP_1)
	v_dual_fmac_f32 v14, v12, v4 :: v_dual_mov_b32 v12, v7
	v_dual_fma_f32 v3, -v3, v14, v13 :: v_dual_mov_b32 v13, v6
	v_pk_mul_f32 v[6:7], v[10:11], v[6:7]
	s_delay_alu instid0(VALU_DEP_2) | instskip(NEXT) | instid1(VALU_DEP_3)
	v_div_fmas_f32 v3, v3, v4, v14
	v_pk_mul_f32 v[8:9], v[8:9], v[12:13]
	s_delay_alu instid0(VALU_DEP_3) | instskip(NEXT) | instid1(VALU_DEP_3)
	v_sub_f32_e32 v4, v6, v7
	v_div_fixup_f32 v0, v3, v0, 1.0
	s_delay_alu instid0(VALU_DEP_3) | instskip(NEXT) | instid1(VALU_DEP_1)
	v_sub_f32_e32 v3, v8, v9
	v_dual_mul_f32 v4, v0, v4 :: v_dual_mul_f32 v7, v0, v3
	v_mov_b32_e32 v0, v5
	ds_store_b32 v2, v4 offset:192
.LBB11_13:
	s_or_b32 exec_lo, exec_lo, s1
	v_lshlrev_b32_e32 v0, 2, v0
	ds_store_b32 v0, v7 offset:192
.LBB11_14:
	s_or_b32 exec_lo, exec_lo, s0
	s_wait_dscnt 0x0
	; wave barrier
	s_and_saveexec_b32 s0, s2
	s_cbranch_execz .LBB11_16
; %bb.15:
	ds_load_b32 v0, v2 offset:192
	s_wait_dscnt 0x0
	s_wait_kmcnt 0x0
	global_store_b32 v1, v0, s[4:5] scale_offset
.LBB11_16:
	s_endpgm
	.section	.rodata,"a",@progbits
	.p2align	6, 0x0
	.amdhsa_kernel _ZN9rocsparseL44gtsv_nopivot_strided_batch_pcr_shared_kernelILj16EfEEviiiPKT0_S3_S3_PS1_
		.amdhsa_group_segment_fixed_size 320
		.amdhsa_private_segment_fixed_size 0
		.amdhsa_kernarg_size 48
		.amdhsa_user_sgpr_count 2
		.amdhsa_user_sgpr_dispatch_ptr 0
		.amdhsa_user_sgpr_queue_ptr 0
		.amdhsa_user_sgpr_kernarg_segment_ptr 1
		.amdhsa_user_sgpr_dispatch_id 0
		.amdhsa_user_sgpr_kernarg_preload_length 0
		.amdhsa_user_sgpr_kernarg_preload_offset 0
		.amdhsa_user_sgpr_private_segment_size 0
		.amdhsa_wavefront_size32 1
		.amdhsa_uses_dynamic_stack 0
		.amdhsa_enable_private_segment 0
		.amdhsa_system_sgpr_workgroup_id_x 1
		.amdhsa_system_sgpr_workgroup_id_y 0
		.amdhsa_system_sgpr_workgroup_id_z 0
		.amdhsa_system_sgpr_workgroup_info 0
		.amdhsa_system_vgpr_workitem_id 0
		.amdhsa_next_free_vgpr 27
		.amdhsa_next_free_sgpr 8
		.amdhsa_named_barrier_count 0
		.amdhsa_reserve_vcc 1
		.amdhsa_float_round_mode_32 0
		.amdhsa_float_round_mode_16_64 0
		.amdhsa_float_denorm_mode_32 3
		.amdhsa_float_denorm_mode_16_64 3
		.amdhsa_fp16_overflow 0
		.amdhsa_memory_ordered 1
		.amdhsa_forward_progress 1
		.amdhsa_inst_pref_size 15
		.amdhsa_round_robin_scheduling 0
		.amdhsa_exception_fp_ieee_invalid_op 0
		.amdhsa_exception_fp_denorm_src 0
		.amdhsa_exception_fp_ieee_div_zero 0
		.amdhsa_exception_fp_ieee_overflow 0
		.amdhsa_exception_fp_ieee_underflow 0
		.amdhsa_exception_fp_ieee_inexact 0
		.amdhsa_exception_int_div_zero 0
	.end_amdhsa_kernel
	.section	.text._ZN9rocsparseL44gtsv_nopivot_strided_batch_pcr_shared_kernelILj16EfEEviiiPKT0_S3_S3_PS1_,"axG",@progbits,_ZN9rocsparseL44gtsv_nopivot_strided_batch_pcr_shared_kernelILj16EfEEviiiPKT0_S3_S3_PS1_,comdat
.Lfunc_end11:
	.size	_ZN9rocsparseL44gtsv_nopivot_strided_batch_pcr_shared_kernelILj16EfEEviiiPKT0_S3_S3_PS1_, .Lfunc_end11-_ZN9rocsparseL44gtsv_nopivot_strided_batch_pcr_shared_kernelILj16EfEEviiiPKT0_S3_S3_PS1_
                                        ; -- End function
	.set _ZN9rocsparseL44gtsv_nopivot_strided_batch_pcr_shared_kernelILj16EfEEviiiPKT0_S3_S3_PS1_.num_vgpr, 27
	.set _ZN9rocsparseL44gtsv_nopivot_strided_batch_pcr_shared_kernelILj16EfEEviiiPKT0_S3_S3_PS1_.num_agpr, 0
	.set _ZN9rocsparseL44gtsv_nopivot_strided_batch_pcr_shared_kernelILj16EfEEviiiPKT0_S3_S3_PS1_.numbered_sgpr, 8
	.set _ZN9rocsparseL44gtsv_nopivot_strided_batch_pcr_shared_kernelILj16EfEEviiiPKT0_S3_S3_PS1_.num_named_barrier, 0
	.set _ZN9rocsparseL44gtsv_nopivot_strided_batch_pcr_shared_kernelILj16EfEEviiiPKT0_S3_S3_PS1_.private_seg_size, 0
	.set _ZN9rocsparseL44gtsv_nopivot_strided_batch_pcr_shared_kernelILj16EfEEviiiPKT0_S3_S3_PS1_.uses_vcc, 1
	.set _ZN9rocsparseL44gtsv_nopivot_strided_batch_pcr_shared_kernelILj16EfEEviiiPKT0_S3_S3_PS1_.uses_flat_scratch, 0
	.set _ZN9rocsparseL44gtsv_nopivot_strided_batch_pcr_shared_kernelILj16EfEEviiiPKT0_S3_S3_PS1_.has_dyn_sized_stack, 0
	.set _ZN9rocsparseL44gtsv_nopivot_strided_batch_pcr_shared_kernelILj16EfEEviiiPKT0_S3_S3_PS1_.has_recursion, 0
	.set _ZN9rocsparseL44gtsv_nopivot_strided_batch_pcr_shared_kernelILj16EfEEviiiPKT0_S3_S3_PS1_.has_indirect_call, 0
	.section	.AMDGPU.csdata,"",@progbits
; Kernel info:
; codeLenInByte = 1840
; TotalNumSgprs: 10
; NumVgprs: 27
; ScratchSize: 0
; MemoryBound: 0
; FloatMode: 240
; IeeeMode: 1
; LDSByteSize: 320 bytes/workgroup (compile time only)
; SGPRBlocks: 0
; VGPRBlocks: 1
; NumSGPRsForWavesPerEU: 10
; NumVGPRsForWavesPerEU: 27
; NamedBarCnt: 0
; Occupancy: 16
; WaveLimiterHint : 0
; COMPUTE_PGM_RSRC2:SCRATCH_EN: 0
; COMPUTE_PGM_RSRC2:USER_SGPR: 2
; COMPUTE_PGM_RSRC2:TRAP_HANDLER: 0
; COMPUTE_PGM_RSRC2:TGID_X_EN: 1
; COMPUTE_PGM_RSRC2:TGID_Y_EN: 0
; COMPUTE_PGM_RSRC2:TGID_Z_EN: 0
; COMPUTE_PGM_RSRC2:TIDIG_COMP_CNT: 0
	.section	.text._ZN9rocsparseL44gtsv_nopivot_strided_batch_pcr_shared_kernelILj32EfEEviiiPKT0_S3_S3_PS1_,"axG",@progbits,_ZN9rocsparseL44gtsv_nopivot_strided_batch_pcr_shared_kernelILj32EfEEviiiPKT0_S3_S3_PS1_,comdat
	.globl	_ZN9rocsparseL44gtsv_nopivot_strided_batch_pcr_shared_kernelILj32EfEEviiiPKT0_S3_S3_PS1_ ; -- Begin function _ZN9rocsparseL44gtsv_nopivot_strided_batch_pcr_shared_kernelILj32EfEEviiiPKT0_S3_S3_PS1_
	.p2align	8
	.type	_ZN9rocsparseL44gtsv_nopivot_strided_batch_pcr_shared_kernelILj32EfEEviiiPKT0_S3_S3_PS1_,@function
_ZN9rocsparseL44gtsv_nopivot_strided_batch_pcr_shared_kernelILj32EfEEviiiPKT0_S3_S3_PS1_: ; @_ZN9rocsparseL44gtsv_nopivot_strided_batch_pcr_shared_kernelILj32EfEEviiiPKT0_S3_S3_PS1_
; %bb.0:
	s_clause 0x1
	s_load_b32 s2, s[0:1], 0x8
	s_load_b32 s3, s[0:1], 0x0
	s_bfe_u32 s4, ttmp6, 0x4000c
	s_and_b32 s5, ttmp6, 15
	s_add_co_i32 s4, s4, 1
	s_getreg_b32 s6, hwreg(HW_REG_IB_STS2, 6, 4)
	s_mul_i32 s4, ttmp9, s4
	v_dual_mov_b32 v3, 0 :: v_dual_mov_b32 v4, 0
	s_add_co_i32 s5, s5, s4
	s_cmp_eq_u32 s6, 0
	s_cselect_b32 s4, ttmp9, s5
	s_wait_kmcnt 0x0
	v_mad_u32 v1, s2, s4, v0
	v_cmp_gt_i32_e64 s2, s3, v0
	s_and_saveexec_b32 s4, s2
	s_cbranch_execz .LBB12_2
; %bb.1:
	s_load_b64 s[6:7], s[0:1], 0x10
	s_wait_kmcnt 0x0
	global_load_b32 v4, v1, s[6:7] scale_offset
.LBB12_2:
	s_wait_xcnt 0x0
	s_or_b32 exec_lo, exec_lo, s4
	v_lshlrev_b32_e32 v2, 2, v0
	s_wait_loadcnt 0x0
	ds_store_b32 v2, v4
	s_and_saveexec_b32 s4, s2
	s_cbranch_execz .LBB12_4
; %bb.3:
	s_load_b64 s[6:7], s[0:1], 0x18
	s_wait_kmcnt 0x0
	global_load_b32 v3, v1, s[6:7] scale_offset
.LBB12_4:
	s_wait_xcnt 0x0
	s_or_b32 exec_lo, exec_lo, s4
	s_load_b64 s[4:5], s[0:1], 0x28
	v_dual_mov_b32 v5, 0 :: v_dual_mov_b32 v6, 0
	s_wait_loadcnt 0x0
	ds_store_b32 v2, v3 offset:128
	s_and_saveexec_b32 s6, s2
	s_cbranch_execz .LBB12_6
; %bb.5:
	s_wait_xcnt 0x0
	s_load_b64 s[0:1], s[0:1], 0x20
	s_wait_kmcnt 0x0
	global_load_b32 v6, v1, s[0:1] scale_offset
.LBB12_6:
	s_wait_xcnt 0x0
	s_or_b32 exec_lo, exec_lo, s6
	v_or_b32_e32 v4, 0x80, v2
	v_or_b32_e32 v3, 0x100, v2
	s_wait_loadcnt 0x0
	ds_store_b32 v2, v6 offset:256
	s_and_saveexec_b32 s0, s2
	s_cbranch_execz .LBB12_8
; %bb.7:
	s_wait_kmcnt 0x0
	global_load_b32 v5, v1, s[4:5] scale_offset
.LBB12_8:
	s_wait_xcnt 0x0
	s_or_b32 exec_lo, exec_lo, s0
	s_add_co_i32 s1, s3, -1
	v_sub_nc_u32_e64 v6, v0, 1 clamp
	v_add_min_i32_e64 v7, v0, 1, s1
	s_wait_loadcnt 0x0
	ds_store_b32 v2, v5 offset:512
	s_wait_dscnt 0x0
	; wave barrier
	v_dual_lshlrev_b32 v5, 2, v6 :: v_dual_lshlrev_b32 v12, 2, v7
	ds_load_b32 v14, v2
	ds_load_2addr_b32 v[6:7], v5 offset1:32
	ds_load_2addr_b32 v[8:9], v12 offset1:32
	ds_load_b32 v15, v3
	ds_load_b32 v16, v4
	ds_load_b32 v17, v2 offset:512
	s_wait_dscnt 0x4
	v_div_scale_f32 v13, null, v7, v7, v14
	s_wait_dscnt 0x2
	v_div_scale_f32 v18, null, v9, v9, v15
	v_div_scale_f32 v21, vcc_lo, v14, v7, v14
	s_delay_alu instid0(VALU_DEP_3) | instskip(NEXT) | instid1(VALU_DEP_2)
	v_rcp_f32_e32 v19, v13
	v_rcp_f32_e32 v20, v18
	v_div_scale_f32 v22, s0, v15, v9, v15
	s_delay_alu instid0(TRANS32_DEP_2) | instskip(NEXT) | instid1(TRANS32_DEP_1)
	v_fma_f32 v10, -v13, v19, 1.0
	v_fma_f32 v11, -v18, v20, 1.0
	s_delay_alu instid0(VALU_DEP_1) | instskip(SKIP_2) | instid1(VALU_DEP_1)
	v_dual_fmac_f32 v19, v10, v19 :: v_dual_fmac_f32 v20, v11, v20
	ds_load_2addr_stride64_b32 v[10:11], v5 offset0:1 offset1:2
	v_dual_mul_f32 v23, v21, v19 :: v_dual_mul_f32 v24, v22, v20
	v_dual_fma_f32 v25, -v13, v23, v21 :: v_dual_fma_f32 v26, -v18, v24, v22
	s_delay_alu instid0(VALU_DEP_1) | instskip(NEXT) | instid1(VALU_DEP_1)
	v_dual_fmac_f32 v23, v25, v19 :: v_dual_fmac_f32 v24, v26, v20
	v_dual_fma_f32 v5, -v13, v23, v21 :: v_dual_fma_f32 v18, -v18, v24, v22
	ds_load_2addr_stride64_b32 v[12:13], v12 offset0:1 offset1:2
	s_wait_dscnt 0x0
	; wave barrier
	v_div_fmas_f32 v5, v5, v19, v23
	s_mov_b32 vcc_lo, s0
	v_div_fmas_f32 v18, v18, v20, v24
	s_delay_alu instid0(VALU_DEP_2) | instskip(SKIP_2) | instid1(VALU_DEP_4)
	v_div_fixup_f32 v5, v5, v7, v14
	v_sub_nc_u32_e64 v7, v0, 2 clamp
	v_add_min_i32_e64 v14, v0, 2, s1
	v_div_fixup_f32 v9, v18, v9, v15
	s_delay_alu instid0(VALU_DEP_4) | instskip(NEXT) | instid1(VALU_DEP_3)
	v_dual_fma_f32 v10, -v5, v10, v16 :: v_dual_fma_f32 v11, -v5, v11, v17
	v_dual_lshlrev_b32 v15, 2, v7 :: v_dual_lshlrev_b32 v14, 2, v14
	v_mul_f32_e64 v5, v5, -v6
	s_delay_alu instid0(VALU_DEP_3)
	v_dual_fma_f32 v7, -v9, v8, v10 :: v_dual_fma_f32 v8, -v9, v13, v11
	v_mul_f32_e64 v6, v9, -v12
	ds_store_b32 v4, v7
	ds_store_b32 v2, v8 offset:512
	ds_store_b32 v2, v5
	ds_store_b32 v3, v6
	s_wait_dscnt 0x0
	; wave barrier
	ds_load_b32 v5, v2
	ds_load_2addr_b32 v[6:7], v15 offset1:32
	ds_load_2addr_b32 v[8:9], v14 offset1:32
	ds_load_b32 v16, v3
	ds_load_b32 v17, v4
	ds_load_b32 v18, v2 offset:512
	s_wait_dscnt 0x4
	v_div_scale_f32 v12, null, v7, v7, v5
	s_wait_dscnt 0x2
	v_div_scale_f32 v19, null, v9, v9, v16
	v_div_scale_f32 v13, vcc_lo, v5, v7, v5
	s_delay_alu instid0(VALU_DEP_3) | instskip(NEXT) | instid1(VALU_DEP_2)
	v_rcp_f32_e32 v20, v12
	v_rcp_f32_e32 v21, v19
	v_div_scale_f32 v22, s0, v16, v9, v16
	s_delay_alu instid0(TRANS32_DEP_2) | instskip(NEXT) | instid1(TRANS32_DEP_1)
	v_fma_f32 v10, -v12, v20, 1.0
	v_fma_f32 v11, -v19, v21, 1.0
	s_delay_alu instid0(VALU_DEP_1) | instskip(SKIP_2) | instid1(VALU_DEP_1)
	v_dual_fmac_f32 v20, v10, v20 :: v_dual_fmac_f32 v21, v11, v21
	ds_load_2addr_stride64_b32 v[10:11], v15 offset0:1 offset1:2
	v_dual_mul_f32 v23, v13, v20 :: v_dual_mul_f32 v24, v22, v21
	v_dual_fma_f32 v25, -v12, v23, v13 :: v_dual_fma_f32 v26, -v19, v24, v22
	s_delay_alu instid0(VALU_DEP_1) | instskip(NEXT) | instid1(VALU_DEP_1)
	v_dual_fmac_f32 v23, v25, v20 :: v_dual_fmac_f32 v24, v26, v21
	v_fma_f32 v15, -v12, v23, v13
	ds_load_2addr_stride64_b32 v[12:13], v14 offset0:1 offset1:2
	v_fma_f32 v14, -v19, v24, v22
	s_wait_dscnt 0x0
	; wave barrier
	v_div_fmas_f32 v15, v15, v20, v23
	s_mov_b32 vcc_lo, s0
	s_delay_alu instid0(VALU_DEP_2) | instskip(NEXT) | instid1(VALU_DEP_2)
	v_div_fmas_f32 v14, v14, v21, v24
	v_div_fixup_f32 v5, v15, v7, v5
	v_sub_nc_u32_e64 v7, v0, 4 clamp
	v_add_min_i32_e64 v15, v0, 4, s1
	s_delay_alu instid0(VALU_DEP_4) | instskip(NEXT) | instid1(VALU_DEP_4)
	v_div_fixup_f32 v9, v14, v9, v16
	v_dual_fma_f32 v10, -v5, v10, v17 :: v_dual_fma_f32 v11, -v5, v11, v18
	s_delay_alu instid0(VALU_DEP_4) | instskip(NEXT) | instid1(VALU_DEP_4)
	v_lshlrev_b32_e32 v14, 2, v7
	v_dual_lshlrev_b32 v15, 2, v15 :: v_dual_mul_f32 v5, v5, -v6
	s_delay_alu instid0(VALU_DEP_3)
	v_dual_fma_f32 v7, -v9, v8, v10 :: v_dual_fma_f32 v8, -v9, v13, v11
	v_mul_f32_e64 v6, v9, -v12
	ds_store_b32 v4, v7
	ds_store_b32 v2, v8 offset:512
	ds_store_b32 v2, v5
	ds_store_b32 v3, v6
	s_wait_dscnt 0x0
	; wave barrier
	ds_load_b32 v5, v2
	ds_load_2addr_b32 v[6:7], v14 offset1:32
	ds_load_2addr_b32 v[8:9], v15 offset1:32
	ds_load_b32 v16, v3
	ds_load_b32 v17, v4
	ds_load_b32 v18, v2 offset:512
	s_wait_dscnt 0x4
	v_div_scale_f32 v12, null, v7, v7, v5
	s_wait_dscnt 0x2
	v_div_scale_f32 v19, null, v9, v9, v16
	v_div_scale_f32 v13, vcc_lo, v5, v7, v5
	s_delay_alu instid0(VALU_DEP_3) | instskip(NEXT) | instid1(VALU_DEP_2)
	v_rcp_f32_e32 v20, v12
	v_rcp_f32_e32 v21, v19
	v_div_scale_f32 v22, s0, v16, v9, v16
	s_delay_alu instid0(TRANS32_DEP_2) | instskip(NEXT) | instid1(TRANS32_DEP_1)
	v_fma_f32 v10, -v12, v20, 1.0
	v_fma_f32 v11, -v19, v21, 1.0
	s_delay_alu instid0(VALU_DEP_1) | instskip(SKIP_2) | instid1(VALU_DEP_1)
	v_dual_fmac_f32 v20, v10, v20 :: v_dual_fmac_f32 v21, v11, v21
	ds_load_2addr_stride64_b32 v[10:11], v14 offset0:1 offset1:2
	v_dual_mul_f32 v23, v13, v20 :: v_dual_mul_f32 v24, v22, v21
	v_dual_fma_f32 v25, -v12, v23, v13 :: v_dual_fma_f32 v26, -v19, v24, v22
	s_delay_alu instid0(VALU_DEP_1) | instskip(NEXT) | instid1(VALU_DEP_1)
	v_dual_fmac_f32 v23, v25, v20 :: v_dual_fmac_f32 v24, v26, v21
	v_fma_f32 v14, -v12, v23, v13
	ds_load_2addr_stride64_b32 v[12:13], v15 offset0:1 offset1:2
	v_fma_f32 v15, -v19, v24, v22
	s_wait_dscnt 0x0
	; wave barrier
	v_div_fmas_f32 v14, v14, v20, v23
	s_mov_b32 vcc_lo, s0
	s_delay_alu instid0(VALU_DEP_2) | instskip(NEXT) | instid1(VALU_DEP_2)
	v_div_fmas_f32 v15, v15, v21, v24
	v_div_fixup_f32 v5, v14, v7, v5
	v_sub_nc_u32_e64 v7, v0, 8 clamp
	v_add_min_i32_e64 v14, v0, 8, s1
	s_delay_alu instid0(VALU_DEP_4) | instskip(NEXT) | instid1(VALU_DEP_4)
	v_div_fixup_f32 v9, v15, v9, v16
	v_dual_fma_f32 v10, -v5, v10, v17 :: v_dual_fma_f32 v11, -v5, v11, v18
	s_delay_alu instid0(VALU_DEP_3) | instskip(SKIP_1) | instid1(VALU_DEP_3)
	v_dual_lshlrev_b32 v15, 2, v7 :: v_dual_lshlrev_b32 v14, 2, v14
	v_mul_f32_e64 v5, v5, -v6
	v_dual_fma_f32 v7, -v9, v8, v10 :: v_dual_fma_f32 v8, -v9, v13, v11
	v_mul_f32_e64 v6, v9, -v12
	ds_store_b32 v4, v7
	ds_store_b32 v2, v8 offset:512
	ds_store_b32 v2, v5
	ds_store_b32 v3, v6
	s_wait_dscnt 0x0
	; wave barrier
	ds_load_b32 v5, v2
	ds_load_2addr_b32 v[6:7], v15 offset1:32
	ds_load_2addr_b32 v[8:9], v14 offset1:32
	ds_load_b32 v16, v3
	ds_load_b32 v17, v4
	ds_load_b32 v18, v2 offset:512
	s_wait_dscnt 0x4
	v_div_scale_f32 v12, null, v7, v7, v5
	s_wait_dscnt 0x2
	v_div_scale_f32 v19, null, v9, v9, v16
	v_div_scale_f32 v13, vcc_lo, v5, v7, v5
	s_delay_alu instid0(VALU_DEP_3) | instskip(NEXT) | instid1(VALU_DEP_2)
	v_rcp_f32_e32 v20, v12
	v_rcp_f32_e32 v21, v19
	v_div_scale_f32 v22, s0, v16, v9, v16
	s_delay_alu instid0(TRANS32_DEP_2) | instskip(NEXT) | instid1(TRANS32_DEP_1)
	v_fma_f32 v10, -v12, v20, 1.0
	v_fma_f32 v11, -v19, v21, 1.0
	s_delay_alu instid0(VALU_DEP_1) | instskip(SKIP_2) | instid1(VALU_DEP_1)
	v_dual_fmac_f32 v20, v10, v20 :: v_dual_fmac_f32 v21, v11, v21
	ds_load_2addr_stride64_b32 v[10:11], v15 offset0:1 offset1:2
	v_dual_mul_f32 v23, v13, v20 :: v_dual_mul_f32 v24, v22, v21
	v_dual_fma_f32 v25, -v12, v23, v13 :: v_dual_fma_f32 v26, -v19, v24, v22
	s_delay_alu instid0(VALU_DEP_1) | instskip(NEXT) | instid1(VALU_DEP_1)
	v_dual_fmac_f32 v23, v25, v20 :: v_dual_fmac_f32 v24, v26, v21
	v_fma_f32 v15, -v12, v23, v13
	ds_load_2addr_stride64_b32 v[12:13], v14 offset0:1 offset1:2
	v_fma_f32 v14, -v19, v24, v22
	s_wait_dscnt 0x0
	; wave barrier
	v_div_fmas_f32 v15, v15, v20, v23
	s_mov_b32 vcc_lo, s0
	s_mov_b32 s0, exec_lo
	v_div_fmas_f32 v14, v14, v21, v24
	s_delay_alu instid0(VALU_DEP_2) | instskip(NEXT) | instid1(VALU_DEP_2)
	v_div_fixup_f32 v5, v15, v7, v5
	v_div_fixup_f32 v7, v14, v9, v16
	s_delay_alu instid0(VALU_DEP_2) | instskip(NEXT) | instid1(VALU_DEP_1)
	v_dual_fma_f32 v9, -v5, v10, v17 :: v_dual_fma_f32 v10, -v5, v11, v18
	v_dual_mul_f32 v5, v5, -v6 :: v_dual_fma_f32 v8, -v7, v8, v9
	s_delay_alu instid0(VALU_DEP_2)
	v_dual_fma_f32 v9, -v7, v13, v10 :: v_dual_mul_f32 v6, v7, -v12
	ds_store_b32 v4, v8
	ds_store_b32 v2, v9 offset:512
	ds_store_b32 v2, v5
	ds_store_b32 v3, v6
	s_wait_dscnt 0x0
	; wave barrier
	v_cmpx_gt_u32_e32 16, v0
	s_cbranch_execz .LBB12_14
; %bb.9:
	v_or_b32_e32 v5, 16, v0
	v_or_b32_e32 v6, 0x200, v2
	s_mov_b32 s1, exec_lo
                                        ; implicit-def: $vgpr7
	s_delay_alu instid0(VALU_DEP_2)
	v_cmpx_le_i32_e64 s3, v5
	s_xor_b32 s1, exec_lo, s1
	s_cbranch_execz .LBB12_11
; %bb.10:
	ds_load_b32 v3, v6
	ds_load_b32 v4, v4
	s_wait_dscnt 0x0
	v_div_scale_f32 v5, null, v4, v4, v3
	s_delay_alu instid0(VALU_DEP_1) | instskip(SKIP_1) | instid1(TRANS32_DEP_1)
	v_rcp_f32_e32 v6, v5
	v_nop
	v_fma_f32 v7, -v5, v6, 1.0
	s_delay_alu instid0(VALU_DEP_1) | instskip(SKIP_1) | instid1(VALU_DEP_1)
	v_fmac_f32_e32 v6, v7, v6
	v_div_scale_f32 v7, vcc_lo, v3, v4, v3
	v_mul_f32_e32 v8, v7, v6
	s_delay_alu instid0(VALU_DEP_1) | instskip(NEXT) | instid1(VALU_DEP_1)
	v_fma_f32 v9, -v5, v8, v7
	v_fmac_f32_e32 v8, v9, v6
	s_delay_alu instid0(VALU_DEP_1) | instskip(NEXT) | instid1(VALU_DEP_1)
	v_fma_f32 v5, -v5, v8, v7
	v_div_fmas_f32 v5, v5, v6, v8
                                        ; implicit-def: $vgpr6
	s_delay_alu instid0(VALU_DEP_1)
	v_div_fixup_f32 v7, v5, v4, v3
                                        ; implicit-def: $vgpr4
                                        ; implicit-def: $vgpr3
                                        ; implicit-def: $vgpr5
.LBB12_11:
	s_and_not1_saveexec_b32 s1, s1
	s_cbranch_execz .LBB12_13
; %bb.12:
	ds_load_2addr_b32 v[8:9], v4 offset1:16
	ds_load_b32 v0, v2 offset:64
	ds_load_b32 v11, v3
	ds_load_2addr_b32 v[6:7], v6 offset1:16
	s_wait_dscnt 0x2
	v_dual_mov_b32 v10, v9 :: v_dual_mov_b32 v9, v0
	s_wait_dscnt 0x1
	s_delay_alu instid0(VALU_DEP_1) | instskip(NEXT) | instid1(VALU_DEP_1)
	v_pk_mul_f32 v[12:13], v[10:11], v[8:9]
	v_sub_f32_e32 v0, v12, v13
	s_delay_alu instid0(VALU_DEP_1) | instskip(NEXT) | instid1(VALU_DEP_1)
	v_div_scale_f32 v3, null, v0, v0, 1.0
	v_rcp_f32_e32 v4, v3
	v_nop
	s_delay_alu instid0(TRANS32_DEP_1) | instskip(NEXT) | instid1(VALU_DEP_1)
	v_fma_f32 v12, -v3, v4, 1.0
	v_fmac_f32_e32 v4, v12, v4
	v_div_scale_f32 v13, vcc_lo, 1.0, v0, 1.0
	s_delay_alu instid0(VALU_DEP_1) | instskip(NEXT) | instid1(VALU_DEP_1)
	v_mul_f32_e32 v14, v13, v4
	v_fma_f32 v12, -v3, v14, v13
	s_wait_dscnt 0x0
	s_delay_alu instid0(VALU_DEP_1) | instskip(NEXT) | instid1(VALU_DEP_1)
	v_dual_fmac_f32 v14, v12, v4 :: v_dual_mov_b32 v12, v7
	v_dual_fma_f32 v3, -v3, v14, v13 :: v_dual_mov_b32 v13, v6
	v_pk_mul_f32 v[6:7], v[10:11], v[6:7]
	s_delay_alu instid0(VALU_DEP_2) | instskip(NEXT) | instid1(VALU_DEP_3)
	v_div_fmas_f32 v3, v3, v4, v14
	v_pk_mul_f32 v[8:9], v[8:9], v[12:13]
	s_delay_alu instid0(VALU_DEP_3) | instskip(NEXT) | instid1(VALU_DEP_3)
	v_sub_f32_e32 v4, v6, v7
	v_div_fixup_f32 v0, v3, v0, 1.0
	s_delay_alu instid0(VALU_DEP_3) | instskip(NEXT) | instid1(VALU_DEP_1)
	v_sub_f32_e32 v3, v8, v9
	v_dual_mul_f32 v4, v0, v4 :: v_dual_mul_f32 v7, v0, v3
	v_mov_b32_e32 v0, v5
	ds_store_b32 v2, v4 offset:384
.LBB12_13:
	s_or_b32 exec_lo, exec_lo, s1
	v_lshlrev_b32_e32 v0, 2, v0
	ds_store_b32 v0, v7 offset:384
.LBB12_14:
	s_or_b32 exec_lo, exec_lo, s0
	s_wait_dscnt 0x0
	; wave barrier
	s_and_saveexec_b32 s0, s2
	s_cbranch_execz .LBB12_16
; %bb.15:
	ds_load_b32 v0, v2 offset:384
	s_wait_dscnt 0x0
	s_wait_kmcnt 0x0
	global_store_b32 v1, v0, s[4:5] scale_offset
.LBB12_16:
	s_endpgm
	.section	.rodata,"a",@progbits
	.p2align	6, 0x0
	.amdhsa_kernel _ZN9rocsparseL44gtsv_nopivot_strided_batch_pcr_shared_kernelILj32EfEEviiiPKT0_S3_S3_PS1_
		.amdhsa_group_segment_fixed_size 640
		.amdhsa_private_segment_fixed_size 0
		.amdhsa_kernarg_size 48
		.amdhsa_user_sgpr_count 2
		.amdhsa_user_sgpr_dispatch_ptr 0
		.amdhsa_user_sgpr_queue_ptr 0
		.amdhsa_user_sgpr_kernarg_segment_ptr 1
		.amdhsa_user_sgpr_dispatch_id 0
		.amdhsa_user_sgpr_kernarg_preload_length 0
		.amdhsa_user_sgpr_kernarg_preload_offset 0
		.amdhsa_user_sgpr_private_segment_size 0
		.amdhsa_wavefront_size32 1
		.amdhsa_uses_dynamic_stack 0
		.amdhsa_enable_private_segment 0
		.amdhsa_system_sgpr_workgroup_id_x 1
		.amdhsa_system_sgpr_workgroup_id_y 0
		.amdhsa_system_sgpr_workgroup_id_z 0
		.amdhsa_system_sgpr_workgroup_info 0
		.amdhsa_system_vgpr_workitem_id 0
		.amdhsa_next_free_vgpr 27
		.amdhsa_next_free_sgpr 8
		.amdhsa_named_barrier_count 0
		.amdhsa_reserve_vcc 1
		.amdhsa_float_round_mode_32 0
		.amdhsa_float_round_mode_16_64 0
		.amdhsa_float_denorm_mode_32 3
		.amdhsa_float_denorm_mode_16_64 3
		.amdhsa_fp16_overflow 0
		.amdhsa_memory_ordered 1
		.amdhsa_forward_progress 1
		.amdhsa_inst_pref_size 18
		.amdhsa_round_robin_scheduling 0
		.amdhsa_exception_fp_ieee_invalid_op 0
		.amdhsa_exception_fp_denorm_src 0
		.amdhsa_exception_fp_ieee_div_zero 0
		.amdhsa_exception_fp_ieee_overflow 0
		.amdhsa_exception_fp_ieee_underflow 0
		.amdhsa_exception_fp_ieee_inexact 0
		.amdhsa_exception_int_div_zero 0
	.end_amdhsa_kernel
	.section	.text._ZN9rocsparseL44gtsv_nopivot_strided_batch_pcr_shared_kernelILj32EfEEviiiPKT0_S3_S3_PS1_,"axG",@progbits,_ZN9rocsparseL44gtsv_nopivot_strided_batch_pcr_shared_kernelILj32EfEEviiiPKT0_S3_S3_PS1_,comdat
.Lfunc_end12:
	.size	_ZN9rocsparseL44gtsv_nopivot_strided_batch_pcr_shared_kernelILj32EfEEviiiPKT0_S3_S3_PS1_, .Lfunc_end12-_ZN9rocsparseL44gtsv_nopivot_strided_batch_pcr_shared_kernelILj32EfEEviiiPKT0_S3_S3_PS1_
                                        ; -- End function
	.set _ZN9rocsparseL44gtsv_nopivot_strided_batch_pcr_shared_kernelILj32EfEEviiiPKT0_S3_S3_PS1_.num_vgpr, 27
	.set _ZN9rocsparseL44gtsv_nopivot_strided_batch_pcr_shared_kernelILj32EfEEviiiPKT0_S3_S3_PS1_.num_agpr, 0
	.set _ZN9rocsparseL44gtsv_nopivot_strided_batch_pcr_shared_kernelILj32EfEEviiiPKT0_S3_S3_PS1_.numbered_sgpr, 8
	.set _ZN9rocsparseL44gtsv_nopivot_strided_batch_pcr_shared_kernelILj32EfEEviiiPKT0_S3_S3_PS1_.num_named_barrier, 0
	.set _ZN9rocsparseL44gtsv_nopivot_strided_batch_pcr_shared_kernelILj32EfEEviiiPKT0_S3_S3_PS1_.private_seg_size, 0
	.set _ZN9rocsparseL44gtsv_nopivot_strided_batch_pcr_shared_kernelILj32EfEEviiiPKT0_S3_S3_PS1_.uses_vcc, 1
	.set _ZN9rocsparseL44gtsv_nopivot_strided_batch_pcr_shared_kernelILj32EfEEviiiPKT0_S3_S3_PS1_.uses_flat_scratch, 0
	.set _ZN9rocsparseL44gtsv_nopivot_strided_batch_pcr_shared_kernelILj32EfEEviiiPKT0_S3_S3_PS1_.has_dyn_sized_stack, 0
	.set _ZN9rocsparseL44gtsv_nopivot_strided_batch_pcr_shared_kernelILj32EfEEviiiPKT0_S3_S3_PS1_.has_recursion, 0
	.set _ZN9rocsparseL44gtsv_nopivot_strided_batch_pcr_shared_kernelILj32EfEEviiiPKT0_S3_S3_PS1_.has_indirect_call, 0
	.section	.AMDGPU.csdata,"",@progbits
; Kernel info:
; codeLenInByte = 2196
; TotalNumSgprs: 10
; NumVgprs: 27
; ScratchSize: 0
; MemoryBound: 0
; FloatMode: 240
; IeeeMode: 1
; LDSByteSize: 640 bytes/workgroup (compile time only)
; SGPRBlocks: 0
; VGPRBlocks: 1
; NumSGPRsForWavesPerEU: 10
; NumVGPRsForWavesPerEU: 27
; NamedBarCnt: 0
; Occupancy: 16
; WaveLimiterHint : 0
; COMPUTE_PGM_RSRC2:SCRATCH_EN: 0
; COMPUTE_PGM_RSRC2:USER_SGPR: 2
; COMPUTE_PGM_RSRC2:TRAP_HANDLER: 0
; COMPUTE_PGM_RSRC2:TGID_X_EN: 1
; COMPUTE_PGM_RSRC2:TGID_Y_EN: 0
; COMPUTE_PGM_RSRC2:TGID_Z_EN: 0
; COMPUTE_PGM_RSRC2:TIDIG_COMP_CNT: 0
	.section	.text._ZN9rocsparseL44gtsv_nopivot_strided_batch_pcr_shared_kernelILj64EfEEviiiPKT0_S3_S3_PS1_,"axG",@progbits,_ZN9rocsparseL44gtsv_nopivot_strided_batch_pcr_shared_kernelILj64EfEEviiiPKT0_S3_S3_PS1_,comdat
	.globl	_ZN9rocsparseL44gtsv_nopivot_strided_batch_pcr_shared_kernelILj64EfEEviiiPKT0_S3_S3_PS1_ ; -- Begin function _ZN9rocsparseL44gtsv_nopivot_strided_batch_pcr_shared_kernelILj64EfEEviiiPKT0_S3_S3_PS1_
	.p2align	8
	.type	_ZN9rocsparseL44gtsv_nopivot_strided_batch_pcr_shared_kernelILj64EfEEviiiPKT0_S3_S3_PS1_,@function
_ZN9rocsparseL44gtsv_nopivot_strided_batch_pcr_shared_kernelILj64EfEEviiiPKT0_S3_S3_PS1_: ; @_ZN9rocsparseL44gtsv_nopivot_strided_batch_pcr_shared_kernelILj64EfEEviiiPKT0_S3_S3_PS1_
; %bb.0:
	s_clause 0x1
	s_load_b32 s2, s[0:1], 0x8
	s_load_b32 s3, s[0:1], 0x0
	s_bfe_u32 s4, ttmp6, 0x4000c
	s_and_b32 s5, ttmp6, 15
	s_add_co_i32 s4, s4, 1
	s_getreg_b32 s6, hwreg(HW_REG_IB_STS2, 6, 4)
	s_mul_i32 s4, ttmp9, s4
	v_dual_mov_b32 v3, 0 :: v_dual_mov_b32 v4, 0
	s_add_co_i32 s5, s5, s4
	s_cmp_eq_u32 s6, 0
	s_cselect_b32 s4, ttmp9, s5
	s_wait_kmcnt 0x0
	v_mad_u32 v1, s2, s4, v0
	v_cmp_gt_i32_e64 s2, s3, v0
	s_and_saveexec_b32 s4, s2
	s_cbranch_execz .LBB13_2
; %bb.1:
	s_load_b64 s[6:7], s[0:1], 0x10
	s_wait_kmcnt 0x0
	global_load_b32 v4, v1, s[6:7] scale_offset
.LBB13_2:
	s_wait_xcnt 0x0
	s_or_b32 exec_lo, exec_lo, s4
	v_lshlrev_b32_e32 v2, 2, v0
	s_wait_loadcnt 0x0
	ds_store_b32 v2, v4
	s_and_saveexec_b32 s4, s2
	s_cbranch_execz .LBB13_4
; %bb.3:
	s_load_b64 s[6:7], s[0:1], 0x18
	s_wait_kmcnt 0x0
	global_load_b32 v3, v1, s[6:7] scale_offset
.LBB13_4:
	s_wait_xcnt 0x0
	s_or_b32 exec_lo, exec_lo, s4
	s_load_b64 s[4:5], s[0:1], 0x28
	v_dual_mov_b32 v5, 0 :: v_dual_mov_b32 v6, 0
	s_wait_loadcnt 0x0
	ds_store_b32 v2, v3 offset:256
	s_and_saveexec_b32 s6, s2
	s_cbranch_execz .LBB13_6
; %bb.5:
	s_wait_xcnt 0x0
	s_load_b64 s[0:1], s[0:1], 0x20
	s_wait_kmcnt 0x0
	global_load_b32 v6, v1, s[0:1] scale_offset
.LBB13_6:
	s_wait_xcnt 0x0
	s_or_b32 exec_lo, exec_lo, s6
	v_or_b32_e32 v4, 0x100, v2
	v_or_b32_e32 v3, 0x200, v2
	s_wait_loadcnt 0x0
	ds_store_b32 v2, v6 offset:512
	s_and_saveexec_b32 s0, s2
	s_cbranch_execz .LBB13_8
; %bb.7:
	s_wait_kmcnt 0x0
	global_load_b32 v5, v1, s[4:5] scale_offset
.LBB13_8:
	s_wait_xcnt 0x0
	s_or_b32 exec_lo, exec_lo, s0
	s_add_co_i32 s1, s3, -1
	v_sub_nc_u32_e64 v6, v0, 1 clamp
	v_add_min_i32_e64 v7, v0, 1, s1
	s_wait_loadcnt 0x0
	ds_store_b32 v2, v5 offset:1024
	s_wait_dscnt 0x0
	s_barrier_signal -1
	v_dual_lshlrev_b32 v5, 2, v6 :: v_dual_lshlrev_b32 v12, 2, v7
	s_barrier_wait -1
	ds_load_b32 v14, v2
	ds_load_2addr_stride64_b32 v[6:7], v5 offset1:1
	ds_load_2addr_stride64_b32 v[8:9], v12 offset1:1
	ds_load_b32 v15, v3
	ds_load_b32 v16, v4
	ds_load_b32 v17, v2 offset:1024
	s_wait_dscnt 0x4
	v_div_scale_f32 v13, null, v7, v7, v14
	s_wait_dscnt 0x2
	v_div_scale_f32 v18, null, v9, v9, v15
	v_div_scale_f32 v21, vcc_lo, v14, v7, v14
	s_delay_alu instid0(VALU_DEP_3) | instskip(NEXT) | instid1(VALU_DEP_2)
	v_rcp_f32_e32 v19, v13
	v_rcp_f32_e32 v20, v18
	v_div_scale_f32 v22, s0, v15, v9, v15
	s_delay_alu instid0(TRANS32_DEP_2) | instskip(NEXT) | instid1(TRANS32_DEP_1)
	v_fma_f32 v10, -v13, v19, 1.0
	v_fma_f32 v11, -v18, v20, 1.0
	s_delay_alu instid0(VALU_DEP_1) | instskip(SKIP_3) | instid1(VALU_DEP_1)
	v_dual_fmac_f32 v19, v10, v19 :: v_dual_fmac_f32 v20, v11, v20
	ds_load_2addr_stride64_b32 v[10:11], v5 offset0:2 offset1:4
	v_sub_nc_u32_e64 v5, v0, 2 clamp
	v_dual_mul_f32 v23, v21, v19 :: v_dual_mul_f32 v24, v22, v20
	v_dual_fma_f32 v25, -v13, v23, v21 :: v_dual_fma_f32 v26, -v18, v24, v22
	s_delay_alu instid0(VALU_DEP_1) | instskip(NEXT) | instid1(VALU_DEP_1)
	v_dual_fmac_f32 v23, v25, v19 :: v_dual_fmac_f32 v24, v26, v20
	v_dual_fma_f32 v21, -v13, v23, v21 :: v_dual_fma_f32 v18, -v18, v24, v22
	ds_load_2addr_stride64_b32 v[12:13], v12 offset0:2 offset1:4
	s_wait_dscnt 0x0
	s_barrier_signal -1
	v_div_fmas_f32 v19, v21, v19, v23
	s_mov_b32 vcc_lo, s0
	v_add_min_i32_e64 v21, v0, 2, s1
	v_div_fmas_f32 v18, v18, v20, v24
	s_barrier_wait -1
	v_div_fixup_f32 v7, v19, v7, v14
	v_lshlrev_b32_e32 v5, 2, v5
	v_lshlrev_b32_e32 v14, 2, v21
	v_div_fixup_f32 v9, v18, v9, v15
	s_delay_alu instid0(VALU_DEP_4) | instskip(NEXT) | instid1(VALU_DEP_1)
	v_dual_fma_f32 v10, -v7, v10, v16 :: v_dual_fma_f32 v11, -v7, v11, v17
	v_dual_mul_f32 v6, v7, -v6 :: v_dual_fma_f32 v8, -v9, v8, v10
	s_delay_alu instid0(VALU_DEP_2)
	v_dual_fma_f32 v10, -v9, v13, v11 :: v_dual_mul_f32 v7, v9, -v12
	ds_store_b32 v4, v8
	ds_store_b32 v2, v10 offset:1024
	ds_store_b32 v2, v6
	ds_store_b32 v3, v7
	s_wait_dscnt 0x0
	s_barrier_signal -1
	s_barrier_wait -1
	ds_load_b32 v15, v2
	ds_load_2addr_stride64_b32 v[6:7], v5 offset1:1
	ds_load_2addr_stride64_b32 v[8:9], v14 offset1:1
	ds_load_b32 v16, v3
	ds_load_b32 v17, v4
	ds_load_b32 v18, v2 offset:1024
	s_wait_dscnt 0x4
	v_div_scale_f32 v12, null, v7, v7, v15
	s_wait_dscnt 0x2
	v_div_scale_f32 v19, null, v9, v9, v16
	v_div_scale_f32 v13, vcc_lo, v15, v7, v15
	s_delay_alu instid0(VALU_DEP_3) | instskip(NEXT) | instid1(VALU_DEP_2)
	v_rcp_f32_e32 v20, v12
	v_rcp_f32_e32 v21, v19
	v_div_scale_f32 v22, s0, v16, v9, v16
	s_delay_alu instid0(TRANS32_DEP_2) | instskip(NEXT) | instid1(TRANS32_DEP_1)
	v_fma_f32 v10, -v12, v20, 1.0
	v_fma_f32 v11, -v19, v21, 1.0
	s_delay_alu instid0(VALU_DEP_1) | instskip(SKIP_3) | instid1(VALU_DEP_1)
	v_dual_fmac_f32 v20, v10, v20 :: v_dual_fmac_f32 v21, v11, v21
	ds_load_2addr_stride64_b32 v[10:11], v5 offset0:2 offset1:4
	v_sub_nc_u32_e64 v5, v0, 4 clamp
	v_dual_mul_f32 v23, v13, v20 :: v_dual_mul_f32 v24, v22, v21
	v_dual_fma_f32 v25, -v12, v23, v13 :: v_dual_fma_f32 v26, -v19, v24, v22
	s_delay_alu instid0(VALU_DEP_1) | instskip(NEXT) | instid1(VALU_DEP_1)
	v_dual_fmac_f32 v23, v25, v20 :: v_dual_fmac_f32 v24, v26, v21
	v_fma_f32 v25, -v12, v23, v13
	ds_load_2addr_stride64_b32 v[12:13], v14 offset0:2 offset1:4
	v_fma_f32 v14, -v19, v24, v22
	s_wait_dscnt 0x0
	s_barrier_signal -1
	v_div_fmas_f32 v19, v25, v20, v23
	s_mov_b32 vcc_lo, s0
	v_add_min_i32_e64 v20, v0, 4, s1
	v_div_fmas_f32 v14, v14, v21, v24
	v_lshlrev_b32_e32 v5, 2, v5
	v_div_fixup_f32 v7, v19, v7, v15
	s_barrier_wait -1
	v_lshlrev_b32_e32 v15, 2, v20
	v_div_fixup_f32 v9, v14, v9, v16
	s_delay_alu instid0(VALU_DEP_3) | instskip(NEXT) | instid1(VALU_DEP_1)
	v_dual_fma_f32 v10, -v7, v10, v17 :: v_dual_fma_f32 v11, -v7, v11, v18
	v_dual_mul_f32 v6, v7, -v6 :: v_dual_fma_f32 v8, -v9, v8, v10
	s_delay_alu instid0(VALU_DEP_2)
	v_dual_fma_f32 v10, -v9, v13, v11 :: v_dual_mul_f32 v7, v9, -v12
	ds_store_b32 v4, v8
	ds_store_b32 v2, v10 offset:1024
	ds_store_b32 v2, v6
	ds_store_b32 v3, v7
	s_wait_dscnt 0x0
	s_barrier_signal -1
	s_barrier_wait -1
	ds_load_b32 v14, v2
	ds_load_2addr_stride64_b32 v[6:7], v5 offset1:1
	ds_load_2addr_stride64_b32 v[8:9], v15 offset1:1
	ds_load_b32 v16, v3
	ds_load_b32 v17, v4
	ds_load_b32 v18, v2 offset:1024
	s_wait_dscnt 0x4
	v_div_scale_f32 v12, null, v7, v7, v14
	s_wait_dscnt 0x2
	v_div_scale_f32 v19, null, v9, v9, v16
	v_div_scale_f32 v13, vcc_lo, v14, v7, v14
	s_delay_alu instid0(VALU_DEP_3) | instskip(NEXT) | instid1(VALU_DEP_2)
	v_rcp_f32_e32 v20, v12
	v_rcp_f32_e32 v21, v19
	v_div_scale_f32 v22, s0, v16, v9, v16
	s_delay_alu instid0(TRANS32_DEP_2) | instskip(NEXT) | instid1(TRANS32_DEP_1)
	v_fma_f32 v10, -v12, v20, 1.0
	v_fma_f32 v11, -v19, v21, 1.0
	s_delay_alu instid0(VALU_DEP_1) | instskip(SKIP_3) | instid1(VALU_DEP_1)
	v_dual_fmac_f32 v20, v10, v20 :: v_dual_fmac_f32 v21, v11, v21
	ds_load_2addr_stride64_b32 v[10:11], v5 offset0:2 offset1:4
	v_sub_nc_u32_e64 v5, v0, 8 clamp
	v_dual_mul_f32 v23, v13, v20 :: v_dual_mul_f32 v24, v22, v21
	v_dual_fma_f32 v25, -v12, v23, v13 :: v_dual_fma_f32 v26, -v19, v24, v22
	s_delay_alu instid0(VALU_DEP_1) | instskip(NEXT) | instid1(VALU_DEP_1)
	v_dual_fmac_f32 v23, v25, v20 :: v_dual_fmac_f32 v24, v26, v21
	v_fma_f32 v25, -v12, v23, v13
	ds_load_2addr_stride64_b32 v[12:13], v15 offset0:2 offset1:4
	v_fma_f32 v15, -v19, v24, v22
	s_wait_dscnt 0x0
	s_barrier_signal -1
	v_div_fmas_f32 v19, v25, v20, v23
	s_mov_b32 vcc_lo, s0
	v_add_min_i32_e64 v20, v0, 8, s1
	v_div_fmas_f32 v15, v15, v21, v24
	v_lshlrev_b32_e32 v5, 2, v5
	v_div_fixup_f32 v7, v19, v7, v14
	s_barrier_wait -1
	v_lshlrev_b32_e32 v14, 2, v20
	v_div_fixup_f32 v9, v15, v9, v16
	s_delay_alu instid0(VALU_DEP_3) | instskip(NEXT) | instid1(VALU_DEP_1)
	;; [unrolled: 52-line block ×3, first 2 shown]
	v_dual_fma_f32 v10, -v7, v10, v17 :: v_dual_fma_f32 v11, -v7, v11, v18
	v_dual_mul_f32 v6, v7, -v6 :: v_dual_fma_f32 v8, -v9, v8, v10
	s_delay_alu instid0(VALU_DEP_2)
	v_dual_fma_f32 v10, -v9, v13, v11 :: v_dual_mul_f32 v7, v9, -v12
	ds_store_b32 v4, v8
	ds_store_b32 v2, v10 offset:1024
	ds_store_b32 v2, v6
	ds_store_b32 v3, v7
	s_wait_dscnt 0x0
	s_barrier_signal -1
	s_barrier_wait -1
	ds_load_b32 v14, v2
	ds_load_2addr_stride64_b32 v[6:7], v5 offset1:1
	ds_load_2addr_stride64_b32 v[8:9], v15 offset1:1
	ds_load_b32 v16, v3
	ds_load_b32 v17, v4
	ds_load_b32 v18, v2 offset:1024
	s_wait_dscnt 0x4
	v_div_scale_f32 v12, null, v7, v7, v14
	s_wait_dscnt 0x2
	v_div_scale_f32 v19, null, v9, v9, v16
	v_div_scale_f32 v13, vcc_lo, v14, v7, v14
	s_delay_alu instid0(VALU_DEP_3) | instskip(NEXT) | instid1(VALU_DEP_2)
	v_rcp_f32_e32 v20, v12
	v_rcp_f32_e32 v21, v19
	v_div_scale_f32 v22, s0, v16, v9, v16
	s_delay_alu instid0(TRANS32_DEP_2) | instskip(NEXT) | instid1(TRANS32_DEP_1)
	v_fma_f32 v10, -v12, v20, 1.0
	v_fma_f32 v11, -v19, v21, 1.0
	s_delay_alu instid0(VALU_DEP_1) | instskip(SKIP_2) | instid1(VALU_DEP_1)
	v_dual_fmac_f32 v20, v10, v20 :: v_dual_fmac_f32 v21, v11, v21
	ds_load_2addr_stride64_b32 v[10:11], v5 offset0:2 offset1:4
	v_dual_mul_f32 v23, v13, v20 :: v_dual_mul_f32 v24, v22, v21
	v_dual_fma_f32 v25, -v12, v23, v13 :: v_dual_fma_f32 v26, -v19, v24, v22
	s_delay_alu instid0(VALU_DEP_1) | instskip(NEXT) | instid1(VALU_DEP_1)
	v_dual_fmac_f32 v23, v25, v20 :: v_dual_fmac_f32 v24, v26, v21
	v_fma_f32 v5, -v12, v23, v13
	ds_load_2addr_stride64_b32 v[12:13], v15 offset0:2 offset1:4
	v_fma_f32 v15, -v19, v24, v22
	s_wait_dscnt 0x0
	s_barrier_signal -1
	v_div_fmas_f32 v5, v5, v20, v23
	s_mov_b32 vcc_lo, s0
	s_mov_b32 s0, exec_lo
	v_div_fmas_f32 v15, v15, v21, v24
	s_barrier_wait -1
	v_div_fixup_f32 v5, v5, v7, v14
	s_delay_alu instid0(VALU_DEP_2) | instskip(NEXT) | instid1(VALU_DEP_2)
	v_div_fixup_f32 v7, v15, v9, v16
	v_dual_fma_f32 v9, -v5, v10, v17 :: v_dual_fma_f32 v10, -v5, v11, v18
	s_delay_alu instid0(VALU_DEP_1) | instskip(NEXT) | instid1(VALU_DEP_2)
	v_dual_mul_f32 v5, v5, -v6 :: v_dual_fma_f32 v8, -v7, v8, v9
	v_dual_fma_f32 v9, -v7, v13, v10 :: v_dual_mul_f32 v6, v7, -v12
	ds_store_b32 v4, v8
	ds_store_b32 v2, v9 offset:1024
	ds_store_b32 v2, v5
	ds_store_b32 v3, v6
	s_wait_dscnt 0x0
	s_barrier_signal -1
	s_barrier_wait -1
	v_cmpx_gt_u32_e32 32, v0
	s_cbranch_execz .LBB13_14
; %bb.9:
	v_or_b32_e32 v5, 32, v0
	v_or_b32_e32 v6, 0x400, v2
	s_mov_b32 s1, exec_lo
                                        ; implicit-def: $vgpr7
	s_delay_alu instid0(VALU_DEP_2)
	v_cmpx_le_i32_e64 s3, v5
	s_xor_b32 s1, exec_lo, s1
	s_cbranch_execz .LBB13_11
; %bb.10:
	ds_load_b32 v3, v6
	ds_load_b32 v4, v4
	s_wait_dscnt 0x0
	v_div_scale_f32 v5, null, v4, v4, v3
	s_delay_alu instid0(VALU_DEP_1) | instskip(SKIP_1) | instid1(TRANS32_DEP_1)
	v_rcp_f32_e32 v6, v5
	v_nop
	v_fma_f32 v7, -v5, v6, 1.0
	s_delay_alu instid0(VALU_DEP_1) | instskip(SKIP_1) | instid1(VALU_DEP_1)
	v_fmac_f32_e32 v6, v7, v6
	v_div_scale_f32 v7, vcc_lo, v3, v4, v3
	v_mul_f32_e32 v8, v7, v6
	s_delay_alu instid0(VALU_DEP_1) | instskip(NEXT) | instid1(VALU_DEP_1)
	v_fma_f32 v9, -v5, v8, v7
	v_fmac_f32_e32 v8, v9, v6
	s_delay_alu instid0(VALU_DEP_1) | instskip(NEXT) | instid1(VALU_DEP_1)
	v_fma_f32 v5, -v5, v8, v7
	v_div_fmas_f32 v5, v5, v6, v8
                                        ; implicit-def: $vgpr6
	s_delay_alu instid0(VALU_DEP_1)
	v_div_fixup_f32 v7, v5, v4, v3
                                        ; implicit-def: $vgpr4
                                        ; implicit-def: $vgpr3
                                        ; implicit-def: $vgpr5
.LBB13_11:
	s_and_not1_saveexec_b32 s1, s1
	s_cbranch_execz .LBB13_13
; %bb.12:
	ds_load_2addr_b32 v[8:9], v4 offset1:32
	ds_load_b32 v0, v2 offset:128
	ds_load_b32 v11, v3
	ds_load_2addr_b32 v[6:7], v6 offset1:32
	s_wait_dscnt 0x2
	v_dual_mov_b32 v10, v9 :: v_dual_mov_b32 v9, v0
	s_wait_dscnt 0x1
	s_delay_alu instid0(VALU_DEP_1) | instskip(NEXT) | instid1(VALU_DEP_1)
	v_pk_mul_f32 v[12:13], v[10:11], v[8:9]
	v_sub_f32_e32 v0, v12, v13
	s_delay_alu instid0(VALU_DEP_1) | instskip(NEXT) | instid1(VALU_DEP_1)
	v_div_scale_f32 v3, null, v0, v0, 1.0
	v_rcp_f32_e32 v4, v3
	v_nop
	s_delay_alu instid0(TRANS32_DEP_1) | instskip(NEXT) | instid1(VALU_DEP_1)
	v_fma_f32 v12, -v3, v4, 1.0
	v_fmac_f32_e32 v4, v12, v4
	v_div_scale_f32 v13, vcc_lo, 1.0, v0, 1.0
	s_delay_alu instid0(VALU_DEP_1) | instskip(NEXT) | instid1(VALU_DEP_1)
	v_mul_f32_e32 v14, v13, v4
	v_fma_f32 v12, -v3, v14, v13
	s_wait_dscnt 0x0
	s_delay_alu instid0(VALU_DEP_1) | instskip(NEXT) | instid1(VALU_DEP_1)
	v_dual_fmac_f32 v14, v12, v4 :: v_dual_mov_b32 v12, v7
	v_dual_fma_f32 v3, -v3, v14, v13 :: v_dual_mov_b32 v13, v6
	v_pk_mul_f32 v[6:7], v[10:11], v[6:7]
	s_delay_alu instid0(VALU_DEP_2) | instskip(NEXT) | instid1(VALU_DEP_3)
	v_div_fmas_f32 v3, v3, v4, v14
	v_pk_mul_f32 v[8:9], v[8:9], v[12:13]
	s_delay_alu instid0(VALU_DEP_3) | instskip(NEXT) | instid1(VALU_DEP_3)
	v_sub_f32_e32 v4, v6, v7
	v_div_fixup_f32 v0, v3, v0, 1.0
	s_delay_alu instid0(VALU_DEP_3) | instskip(NEXT) | instid1(VALU_DEP_1)
	v_sub_f32_e32 v3, v8, v9
	v_dual_mul_f32 v4, v0, v4 :: v_dual_mul_f32 v7, v0, v3
	v_mov_b32_e32 v0, v5
	ds_store_b32 v2, v4 offset:768
.LBB13_13:
	s_or_b32 exec_lo, exec_lo, s1
	v_lshlrev_b32_e32 v0, 2, v0
	ds_store_b32 v0, v7 offset:768
.LBB13_14:
	s_or_b32 exec_lo, exec_lo, s0
	s_wait_dscnt 0x0
	s_barrier_signal -1
	s_barrier_wait -1
	s_and_saveexec_b32 s0, s2
	s_cbranch_execz .LBB13_16
; %bb.15:
	ds_load_b32 v0, v2 offset:768
	s_wait_dscnt 0x0
	s_wait_kmcnt 0x0
	global_store_b32 v1, v0, s[4:5] scale_offset
.LBB13_16:
	s_endpgm
	.section	.rodata,"a",@progbits
	.p2align	6, 0x0
	.amdhsa_kernel _ZN9rocsparseL44gtsv_nopivot_strided_batch_pcr_shared_kernelILj64EfEEviiiPKT0_S3_S3_PS1_
		.amdhsa_group_segment_fixed_size 1280
		.amdhsa_private_segment_fixed_size 0
		.amdhsa_kernarg_size 48
		.amdhsa_user_sgpr_count 2
		.amdhsa_user_sgpr_dispatch_ptr 0
		.amdhsa_user_sgpr_queue_ptr 0
		.amdhsa_user_sgpr_kernarg_segment_ptr 1
		.amdhsa_user_sgpr_dispatch_id 0
		.amdhsa_user_sgpr_kernarg_preload_length 0
		.amdhsa_user_sgpr_kernarg_preload_offset 0
		.amdhsa_user_sgpr_private_segment_size 0
		.amdhsa_wavefront_size32 1
		.amdhsa_uses_dynamic_stack 0
		.amdhsa_enable_private_segment 0
		.amdhsa_system_sgpr_workgroup_id_x 1
		.amdhsa_system_sgpr_workgroup_id_y 0
		.amdhsa_system_sgpr_workgroup_id_z 0
		.amdhsa_system_sgpr_workgroup_info 0
		.amdhsa_system_vgpr_workitem_id 0
		.amdhsa_next_free_vgpr 27
		.amdhsa_next_free_sgpr 8
		.amdhsa_named_barrier_count 0
		.amdhsa_reserve_vcc 1
		.amdhsa_float_round_mode_32 0
		.amdhsa_float_round_mode_16_64 0
		.amdhsa_float_denorm_mode_32 3
		.amdhsa_float_denorm_mode_16_64 3
		.amdhsa_fp16_overflow 0
		.amdhsa_memory_ordered 1
		.amdhsa_forward_progress 1
		.amdhsa_inst_pref_size 21
		.amdhsa_round_robin_scheduling 0
		.amdhsa_exception_fp_ieee_invalid_op 0
		.amdhsa_exception_fp_denorm_src 0
		.amdhsa_exception_fp_ieee_div_zero 0
		.amdhsa_exception_fp_ieee_overflow 0
		.amdhsa_exception_fp_ieee_underflow 0
		.amdhsa_exception_fp_ieee_inexact 0
		.amdhsa_exception_int_div_zero 0
	.end_amdhsa_kernel
	.section	.text._ZN9rocsparseL44gtsv_nopivot_strided_batch_pcr_shared_kernelILj64EfEEviiiPKT0_S3_S3_PS1_,"axG",@progbits,_ZN9rocsparseL44gtsv_nopivot_strided_batch_pcr_shared_kernelILj64EfEEviiiPKT0_S3_S3_PS1_,comdat
.Lfunc_end13:
	.size	_ZN9rocsparseL44gtsv_nopivot_strided_batch_pcr_shared_kernelILj64EfEEviiiPKT0_S3_S3_PS1_, .Lfunc_end13-_ZN9rocsparseL44gtsv_nopivot_strided_batch_pcr_shared_kernelILj64EfEEviiiPKT0_S3_S3_PS1_
                                        ; -- End function
	.set _ZN9rocsparseL44gtsv_nopivot_strided_batch_pcr_shared_kernelILj64EfEEviiiPKT0_S3_S3_PS1_.num_vgpr, 27
	.set _ZN9rocsparseL44gtsv_nopivot_strided_batch_pcr_shared_kernelILj64EfEEviiiPKT0_S3_S3_PS1_.num_agpr, 0
	.set _ZN9rocsparseL44gtsv_nopivot_strided_batch_pcr_shared_kernelILj64EfEEviiiPKT0_S3_S3_PS1_.numbered_sgpr, 8
	.set _ZN9rocsparseL44gtsv_nopivot_strided_batch_pcr_shared_kernelILj64EfEEviiiPKT0_S3_S3_PS1_.num_named_barrier, 0
	.set _ZN9rocsparseL44gtsv_nopivot_strided_batch_pcr_shared_kernelILj64EfEEviiiPKT0_S3_S3_PS1_.private_seg_size, 0
	.set _ZN9rocsparseL44gtsv_nopivot_strided_batch_pcr_shared_kernelILj64EfEEviiiPKT0_S3_S3_PS1_.uses_vcc, 1
	.set _ZN9rocsparseL44gtsv_nopivot_strided_batch_pcr_shared_kernelILj64EfEEviiiPKT0_S3_S3_PS1_.uses_flat_scratch, 0
	.set _ZN9rocsparseL44gtsv_nopivot_strided_batch_pcr_shared_kernelILj64EfEEviiiPKT0_S3_S3_PS1_.has_dyn_sized_stack, 0
	.set _ZN9rocsparseL44gtsv_nopivot_strided_batch_pcr_shared_kernelILj64EfEEviiiPKT0_S3_S3_PS1_.has_recursion, 0
	.set _ZN9rocsparseL44gtsv_nopivot_strided_batch_pcr_shared_kernelILj64EfEEviiiPKT0_S3_S3_PS1_.has_indirect_call, 0
	.section	.AMDGPU.csdata,"",@progbits
; Kernel info:
; codeLenInByte = 2592
; TotalNumSgprs: 10
; NumVgprs: 27
; ScratchSize: 0
; MemoryBound: 0
; FloatMode: 240
; IeeeMode: 1
; LDSByteSize: 1280 bytes/workgroup (compile time only)
; SGPRBlocks: 0
; VGPRBlocks: 1
; NumSGPRsForWavesPerEU: 10
; NumVGPRsForWavesPerEU: 27
; NamedBarCnt: 0
; Occupancy: 16
; WaveLimiterHint : 0
; COMPUTE_PGM_RSRC2:SCRATCH_EN: 0
; COMPUTE_PGM_RSRC2:USER_SGPR: 2
; COMPUTE_PGM_RSRC2:TRAP_HANDLER: 0
; COMPUTE_PGM_RSRC2:TGID_X_EN: 1
; COMPUTE_PGM_RSRC2:TGID_Y_EN: 0
; COMPUTE_PGM_RSRC2:TGID_Z_EN: 0
; COMPUTE_PGM_RSRC2:TIDIG_COMP_CNT: 0
	.section	.text._ZN9rocsparseL44gtsv_nopivot_strided_batch_pcr_shared_kernelILj128EfEEviiiPKT0_S3_S3_PS1_,"axG",@progbits,_ZN9rocsparseL44gtsv_nopivot_strided_batch_pcr_shared_kernelILj128EfEEviiiPKT0_S3_S3_PS1_,comdat
	.globl	_ZN9rocsparseL44gtsv_nopivot_strided_batch_pcr_shared_kernelILj128EfEEviiiPKT0_S3_S3_PS1_ ; -- Begin function _ZN9rocsparseL44gtsv_nopivot_strided_batch_pcr_shared_kernelILj128EfEEviiiPKT0_S3_S3_PS1_
	.p2align	8
	.type	_ZN9rocsparseL44gtsv_nopivot_strided_batch_pcr_shared_kernelILj128EfEEviiiPKT0_S3_S3_PS1_,@function
_ZN9rocsparseL44gtsv_nopivot_strided_batch_pcr_shared_kernelILj128EfEEviiiPKT0_S3_S3_PS1_: ; @_ZN9rocsparseL44gtsv_nopivot_strided_batch_pcr_shared_kernelILj128EfEEviiiPKT0_S3_S3_PS1_
; %bb.0:
	s_clause 0x1
	s_load_b32 s2, s[0:1], 0x8
	s_load_b32 s3, s[0:1], 0x0
	s_bfe_u32 s4, ttmp6, 0x4000c
	s_and_b32 s5, ttmp6, 15
	s_add_co_i32 s4, s4, 1
	s_getreg_b32 s6, hwreg(HW_REG_IB_STS2, 6, 4)
	s_mul_i32 s4, ttmp9, s4
	v_dual_mov_b32 v3, 0 :: v_dual_mov_b32 v4, 0
	s_add_co_i32 s5, s5, s4
	s_cmp_eq_u32 s6, 0
	s_cselect_b32 s4, ttmp9, s5
	s_wait_kmcnt 0x0
	v_mad_u32 v1, s2, s4, v0
	v_cmp_gt_i32_e64 s2, s3, v0
	s_and_saveexec_b32 s4, s2
	s_cbranch_execz .LBB14_2
; %bb.1:
	s_load_b64 s[6:7], s[0:1], 0x10
	s_wait_kmcnt 0x0
	global_load_b32 v4, v1, s[6:7] scale_offset
.LBB14_2:
	s_wait_xcnt 0x0
	s_or_b32 exec_lo, exec_lo, s4
	v_lshlrev_b32_e32 v2, 2, v0
	s_wait_loadcnt 0x0
	ds_store_b32 v2, v4
	s_and_saveexec_b32 s4, s2
	s_cbranch_execz .LBB14_4
; %bb.3:
	s_load_b64 s[6:7], s[0:1], 0x18
	s_wait_kmcnt 0x0
	global_load_b32 v3, v1, s[6:7] scale_offset
.LBB14_4:
	s_wait_xcnt 0x0
	s_or_b32 exec_lo, exec_lo, s4
	s_load_b64 s[4:5], s[0:1], 0x28
	v_dual_mov_b32 v5, 0 :: v_dual_mov_b32 v6, 0
	s_wait_loadcnt 0x0
	ds_store_b32 v2, v3 offset:512
	s_and_saveexec_b32 s6, s2
	s_cbranch_execz .LBB14_6
; %bb.5:
	s_wait_xcnt 0x0
	s_load_b64 s[0:1], s[0:1], 0x20
	s_wait_kmcnt 0x0
	global_load_b32 v6, v1, s[0:1] scale_offset
.LBB14_6:
	s_wait_xcnt 0x0
	s_or_b32 exec_lo, exec_lo, s6
	v_or_b32_e32 v4, 0x200, v2
	v_or_b32_e32 v3, 0x400, v2
	s_wait_loadcnt 0x0
	ds_store_b32 v2, v6 offset:1024
	s_and_saveexec_b32 s0, s2
	s_cbranch_execz .LBB14_8
; %bb.7:
	s_wait_kmcnt 0x0
	global_load_b32 v5, v1, s[4:5] scale_offset
.LBB14_8:
	s_wait_xcnt 0x0
	s_or_b32 exec_lo, exec_lo, s0
	s_add_co_i32 s1, s3, -1
	v_sub_nc_u32_e64 v6, v0, 1 clamp
	v_add_min_i32_e64 v7, v0, 1, s1
	s_wait_loadcnt 0x0
	ds_store_b32 v2, v5 offset:2048
	s_wait_dscnt 0x0
	s_barrier_signal -1
	v_dual_lshlrev_b32 v5, 2, v6 :: v_dual_lshlrev_b32 v12, 2, v7
	s_barrier_wait -1
	ds_load_b32 v14, v2
	ds_load_2addr_stride64_b32 v[6:7], v5 offset1:2
	ds_load_2addr_stride64_b32 v[8:9], v12 offset1:2
	ds_load_b32 v15, v3
	ds_load_b32 v16, v4
	ds_load_b32 v17, v2 offset:2048
	s_wait_dscnt 0x4
	v_div_scale_f32 v13, null, v7, v7, v14
	s_wait_dscnt 0x2
	v_div_scale_f32 v18, null, v9, v9, v15
	v_div_scale_f32 v21, vcc_lo, v14, v7, v14
	s_delay_alu instid0(VALU_DEP_3) | instskip(NEXT) | instid1(VALU_DEP_2)
	v_rcp_f32_e32 v19, v13
	v_rcp_f32_e32 v20, v18
	v_div_scale_f32 v22, s0, v15, v9, v15
	s_delay_alu instid0(TRANS32_DEP_2) | instskip(NEXT) | instid1(TRANS32_DEP_1)
	v_fma_f32 v10, -v13, v19, 1.0
	v_fma_f32 v11, -v18, v20, 1.0
	s_delay_alu instid0(VALU_DEP_1) | instskip(SKIP_3) | instid1(VALU_DEP_1)
	v_dual_fmac_f32 v19, v10, v19 :: v_dual_fmac_f32 v20, v11, v20
	ds_load_2addr_stride64_b32 v[10:11], v5 offset0:4 offset1:8
	v_sub_nc_u32_e64 v5, v0, 2 clamp
	v_dual_mul_f32 v23, v21, v19 :: v_dual_mul_f32 v24, v22, v20
	v_dual_fma_f32 v25, -v13, v23, v21 :: v_dual_fma_f32 v26, -v18, v24, v22
	s_delay_alu instid0(VALU_DEP_1) | instskip(NEXT) | instid1(VALU_DEP_1)
	v_dual_fmac_f32 v23, v25, v19 :: v_dual_fmac_f32 v24, v26, v20
	v_dual_fma_f32 v21, -v13, v23, v21 :: v_dual_fma_f32 v18, -v18, v24, v22
	ds_load_2addr_stride64_b32 v[12:13], v12 offset0:4 offset1:8
	s_wait_dscnt 0x0
	s_barrier_signal -1
	v_div_fmas_f32 v19, v21, v19, v23
	s_mov_b32 vcc_lo, s0
	v_add_min_i32_e64 v21, v0, 2, s1
	v_div_fmas_f32 v18, v18, v20, v24
	s_barrier_wait -1
	v_div_fixup_f32 v7, v19, v7, v14
	v_lshlrev_b32_e32 v5, 2, v5
	v_lshlrev_b32_e32 v14, 2, v21
	v_div_fixup_f32 v9, v18, v9, v15
	s_delay_alu instid0(VALU_DEP_4) | instskip(NEXT) | instid1(VALU_DEP_1)
	v_dual_fma_f32 v10, -v7, v10, v16 :: v_dual_fma_f32 v11, -v7, v11, v17
	v_dual_mul_f32 v6, v7, -v6 :: v_dual_fma_f32 v8, -v9, v8, v10
	s_delay_alu instid0(VALU_DEP_2)
	v_dual_fma_f32 v10, -v9, v13, v11 :: v_dual_mul_f32 v7, v9, -v12
	ds_store_b32 v4, v8
	ds_store_b32 v2, v10 offset:2048
	ds_store_b32 v2, v6
	ds_store_b32 v3, v7
	s_wait_dscnt 0x0
	s_barrier_signal -1
	s_barrier_wait -1
	ds_load_b32 v15, v2
	ds_load_2addr_stride64_b32 v[6:7], v5 offset1:2
	ds_load_2addr_stride64_b32 v[8:9], v14 offset1:2
	ds_load_b32 v16, v3
	ds_load_b32 v17, v4
	ds_load_b32 v18, v2 offset:2048
	s_wait_dscnt 0x4
	v_div_scale_f32 v12, null, v7, v7, v15
	s_wait_dscnt 0x2
	v_div_scale_f32 v19, null, v9, v9, v16
	v_div_scale_f32 v13, vcc_lo, v15, v7, v15
	s_delay_alu instid0(VALU_DEP_3) | instskip(NEXT) | instid1(VALU_DEP_2)
	v_rcp_f32_e32 v20, v12
	v_rcp_f32_e32 v21, v19
	v_div_scale_f32 v22, s0, v16, v9, v16
	s_delay_alu instid0(TRANS32_DEP_2) | instskip(NEXT) | instid1(TRANS32_DEP_1)
	v_fma_f32 v10, -v12, v20, 1.0
	v_fma_f32 v11, -v19, v21, 1.0
	s_delay_alu instid0(VALU_DEP_1) | instskip(SKIP_3) | instid1(VALU_DEP_1)
	v_dual_fmac_f32 v20, v10, v20 :: v_dual_fmac_f32 v21, v11, v21
	ds_load_2addr_stride64_b32 v[10:11], v5 offset0:4 offset1:8
	v_sub_nc_u32_e64 v5, v0, 4 clamp
	v_dual_mul_f32 v23, v13, v20 :: v_dual_mul_f32 v24, v22, v21
	v_dual_fma_f32 v25, -v12, v23, v13 :: v_dual_fma_f32 v26, -v19, v24, v22
	s_delay_alu instid0(VALU_DEP_1) | instskip(NEXT) | instid1(VALU_DEP_1)
	v_dual_fmac_f32 v23, v25, v20 :: v_dual_fmac_f32 v24, v26, v21
	v_fma_f32 v25, -v12, v23, v13
	ds_load_2addr_stride64_b32 v[12:13], v14 offset0:4 offset1:8
	v_fma_f32 v14, -v19, v24, v22
	s_wait_dscnt 0x0
	s_barrier_signal -1
	v_div_fmas_f32 v19, v25, v20, v23
	s_mov_b32 vcc_lo, s0
	v_add_min_i32_e64 v20, v0, 4, s1
	v_div_fmas_f32 v14, v14, v21, v24
	v_lshlrev_b32_e32 v5, 2, v5
	v_div_fixup_f32 v7, v19, v7, v15
	s_barrier_wait -1
	v_lshlrev_b32_e32 v15, 2, v20
	v_div_fixup_f32 v9, v14, v9, v16
	s_delay_alu instid0(VALU_DEP_3) | instskip(NEXT) | instid1(VALU_DEP_1)
	v_dual_fma_f32 v10, -v7, v10, v17 :: v_dual_fma_f32 v11, -v7, v11, v18
	v_dual_mul_f32 v6, v7, -v6 :: v_dual_fma_f32 v8, -v9, v8, v10
	s_delay_alu instid0(VALU_DEP_2)
	v_dual_fma_f32 v10, -v9, v13, v11 :: v_dual_mul_f32 v7, v9, -v12
	ds_store_b32 v4, v8
	ds_store_b32 v2, v10 offset:2048
	ds_store_b32 v2, v6
	ds_store_b32 v3, v7
	s_wait_dscnt 0x0
	s_barrier_signal -1
	s_barrier_wait -1
	ds_load_b32 v14, v2
	ds_load_2addr_stride64_b32 v[6:7], v5 offset1:2
	ds_load_2addr_stride64_b32 v[8:9], v15 offset1:2
	ds_load_b32 v16, v3
	ds_load_b32 v17, v4
	ds_load_b32 v18, v2 offset:2048
	s_wait_dscnt 0x4
	v_div_scale_f32 v12, null, v7, v7, v14
	s_wait_dscnt 0x2
	v_div_scale_f32 v19, null, v9, v9, v16
	v_div_scale_f32 v13, vcc_lo, v14, v7, v14
	s_delay_alu instid0(VALU_DEP_3) | instskip(NEXT) | instid1(VALU_DEP_2)
	v_rcp_f32_e32 v20, v12
	v_rcp_f32_e32 v21, v19
	v_div_scale_f32 v22, s0, v16, v9, v16
	s_delay_alu instid0(TRANS32_DEP_2) | instskip(NEXT) | instid1(TRANS32_DEP_1)
	v_fma_f32 v10, -v12, v20, 1.0
	v_fma_f32 v11, -v19, v21, 1.0
	s_delay_alu instid0(VALU_DEP_1) | instskip(SKIP_3) | instid1(VALU_DEP_1)
	v_dual_fmac_f32 v20, v10, v20 :: v_dual_fmac_f32 v21, v11, v21
	ds_load_2addr_stride64_b32 v[10:11], v5 offset0:4 offset1:8
	v_sub_nc_u32_e64 v5, v0, 8 clamp
	v_dual_mul_f32 v23, v13, v20 :: v_dual_mul_f32 v24, v22, v21
	v_dual_fma_f32 v25, -v12, v23, v13 :: v_dual_fma_f32 v26, -v19, v24, v22
	s_delay_alu instid0(VALU_DEP_1) | instskip(NEXT) | instid1(VALU_DEP_1)
	v_dual_fmac_f32 v23, v25, v20 :: v_dual_fmac_f32 v24, v26, v21
	v_fma_f32 v25, -v12, v23, v13
	ds_load_2addr_stride64_b32 v[12:13], v15 offset0:4 offset1:8
	v_fma_f32 v15, -v19, v24, v22
	s_wait_dscnt 0x0
	s_barrier_signal -1
	v_div_fmas_f32 v19, v25, v20, v23
	s_mov_b32 vcc_lo, s0
	v_add_min_i32_e64 v20, v0, 8, s1
	v_div_fmas_f32 v15, v15, v21, v24
	v_lshlrev_b32_e32 v5, 2, v5
	v_div_fixup_f32 v7, v19, v7, v14
	s_barrier_wait -1
	v_lshlrev_b32_e32 v14, 2, v20
	v_div_fixup_f32 v9, v15, v9, v16
	s_delay_alu instid0(VALU_DEP_3) | instskip(NEXT) | instid1(VALU_DEP_1)
	v_dual_fma_f32 v10, -v7, v10, v17 :: v_dual_fma_f32 v11, -v7, v11, v18
	v_dual_mul_f32 v6, v7, -v6 :: v_dual_fma_f32 v8, -v9, v8, v10
	s_delay_alu instid0(VALU_DEP_2)
	v_dual_fma_f32 v10, -v9, v13, v11 :: v_dual_mul_f32 v7, v9, -v12
	ds_store_b32 v4, v8
	ds_store_b32 v2, v10 offset:2048
	ds_store_b32 v2, v6
	ds_store_b32 v3, v7
	s_wait_dscnt 0x0
	s_barrier_signal -1
	s_barrier_wait -1
	ds_load_b32 v15, v2
	ds_load_2addr_stride64_b32 v[6:7], v5 offset1:2
	ds_load_2addr_stride64_b32 v[8:9], v14 offset1:2
	ds_load_b32 v16, v3
	ds_load_b32 v17, v4
	ds_load_b32 v18, v2 offset:2048
	s_wait_dscnt 0x4
	v_div_scale_f32 v12, null, v7, v7, v15
	s_wait_dscnt 0x2
	v_div_scale_f32 v19, null, v9, v9, v16
	v_div_scale_f32 v13, vcc_lo, v15, v7, v15
	s_delay_alu instid0(VALU_DEP_3) | instskip(NEXT) | instid1(VALU_DEP_2)
	v_rcp_f32_e32 v20, v12
	v_rcp_f32_e32 v21, v19
	v_div_scale_f32 v22, s0, v16, v9, v16
	s_delay_alu instid0(TRANS32_DEP_2) | instskip(NEXT) | instid1(TRANS32_DEP_1)
	v_fma_f32 v10, -v12, v20, 1.0
	v_fma_f32 v11, -v19, v21, 1.0
	s_delay_alu instid0(VALU_DEP_1) | instskip(SKIP_3) | instid1(VALU_DEP_1)
	v_dual_fmac_f32 v20, v10, v20 :: v_dual_fmac_f32 v21, v11, v21
	ds_load_2addr_stride64_b32 v[10:11], v5 offset0:4 offset1:8
	v_sub_nc_u32_e64 v5, v0, 16 clamp
	v_dual_mul_f32 v23, v13, v20 :: v_dual_mul_f32 v24, v22, v21
	v_dual_fma_f32 v25, -v12, v23, v13 :: v_dual_fma_f32 v26, -v19, v24, v22
	s_delay_alu instid0(VALU_DEP_1) | instskip(NEXT) | instid1(VALU_DEP_1)
	v_dual_fmac_f32 v23, v25, v20 :: v_dual_fmac_f32 v24, v26, v21
	v_fma_f32 v25, -v12, v23, v13
	ds_load_2addr_stride64_b32 v[12:13], v14 offset0:4 offset1:8
	v_fma_f32 v14, -v19, v24, v22
	s_wait_dscnt 0x0
	s_barrier_signal -1
	v_div_fmas_f32 v19, v25, v20, v23
	s_mov_b32 vcc_lo, s0
	v_add_min_i32_e64 v20, v0, 16, s1
	v_div_fmas_f32 v14, v14, v21, v24
	v_lshlrev_b32_e32 v5, 2, v5
	v_div_fixup_f32 v7, v19, v7, v15
	s_barrier_wait -1
	v_lshlrev_b32_e32 v15, 2, v20
	v_div_fixup_f32 v9, v14, v9, v16
	s_delay_alu instid0(VALU_DEP_3) | instskip(NEXT) | instid1(VALU_DEP_1)
	v_dual_fma_f32 v10, -v7, v10, v17 :: v_dual_fma_f32 v11, -v7, v11, v18
	v_dual_mul_f32 v6, v7, -v6 :: v_dual_fma_f32 v8, -v9, v8, v10
	s_delay_alu instid0(VALU_DEP_2)
	v_dual_fma_f32 v10, -v9, v13, v11 :: v_dual_mul_f32 v7, v9, -v12
	ds_store_b32 v4, v8
	ds_store_b32 v2, v10 offset:2048
	ds_store_b32 v2, v6
	ds_store_b32 v3, v7
	s_wait_dscnt 0x0
	s_barrier_signal -1
	s_barrier_wait -1
	ds_load_b32 v14, v2
	ds_load_2addr_stride64_b32 v[6:7], v5 offset1:2
	ds_load_2addr_stride64_b32 v[8:9], v15 offset1:2
	ds_load_b32 v16, v3
	ds_load_b32 v17, v4
	ds_load_b32 v18, v2 offset:2048
	s_wait_dscnt 0x4
	v_div_scale_f32 v12, null, v7, v7, v14
	s_wait_dscnt 0x2
	v_div_scale_f32 v19, null, v9, v9, v16
	v_div_scale_f32 v13, vcc_lo, v14, v7, v14
	s_delay_alu instid0(VALU_DEP_3) | instskip(NEXT) | instid1(VALU_DEP_2)
	v_rcp_f32_e32 v20, v12
	v_rcp_f32_e32 v21, v19
	v_div_scale_f32 v22, s0, v16, v9, v16
	s_delay_alu instid0(TRANS32_DEP_2) | instskip(NEXT) | instid1(TRANS32_DEP_1)
	v_fma_f32 v10, -v12, v20, 1.0
	v_fma_f32 v11, -v19, v21, 1.0
	s_delay_alu instid0(VALU_DEP_1) | instskip(SKIP_3) | instid1(VALU_DEP_1)
	v_dual_fmac_f32 v20, v10, v20 :: v_dual_fmac_f32 v21, v11, v21
	ds_load_2addr_stride64_b32 v[10:11], v5 offset0:4 offset1:8
	v_sub_nc_u32_e64 v5, v0, 32 clamp
	v_dual_mul_f32 v23, v13, v20 :: v_dual_mul_f32 v24, v22, v21
	v_dual_fma_f32 v25, -v12, v23, v13 :: v_dual_fma_f32 v26, -v19, v24, v22
	s_delay_alu instid0(VALU_DEP_1) | instskip(NEXT) | instid1(VALU_DEP_1)
	v_dual_fmac_f32 v23, v25, v20 :: v_dual_fmac_f32 v24, v26, v21
	v_fma_f32 v25, -v12, v23, v13
	ds_load_2addr_stride64_b32 v[12:13], v15 offset0:4 offset1:8
	v_fma_f32 v15, -v19, v24, v22
	s_wait_dscnt 0x0
	s_barrier_signal -1
	v_div_fmas_f32 v19, v25, v20, v23
	s_mov_b32 vcc_lo, s0
	v_add_min_i32_e64 v20, v0, 32, s1
	v_div_fmas_f32 v15, v15, v21, v24
	v_lshlrev_b32_e32 v5, 2, v5
	v_div_fixup_f32 v7, v19, v7, v14
	s_barrier_wait -1
	v_lshlrev_b32_e32 v14, 2, v20
	v_div_fixup_f32 v9, v15, v9, v16
	s_delay_alu instid0(VALU_DEP_3) | instskip(NEXT) | instid1(VALU_DEP_1)
	v_dual_fma_f32 v10, -v7, v10, v17 :: v_dual_fma_f32 v11, -v7, v11, v18
	v_dual_mul_f32 v6, v7, -v6 :: v_dual_fma_f32 v8, -v9, v8, v10
	s_delay_alu instid0(VALU_DEP_2)
	v_dual_fma_f32 v10, -v9, v13, v11 :: v_dual_mul_f32 v7, v9, -v12
	ds_store_b32 v4, v8
	ds_store_b32 v2, v10 offset:2048
	ds_store_b32 v2, v6
	ds_store_b32 v3, v7
	s_wait_dscnt 0x0
	s_barrier_signal -1
	s_barrier_wait -1
	ds_load_b32 v15, v2
	ds_load_2addr_stride64_b32 v[6:7], v5 offset1:2
	ds_load_2addr_stride64_b32 v[8:9], v14 offset1:2
	ds_load_b32 v16, v3
	ds_load_b32 v17, v4
	ds_load_b32 v18, v2 offset:2048
	s_wait_dscnt 0x4
	v_div_scale_f32 v12, null, v7, v7, v15
	s_wait_dscnt 0x2
	v_div_scale_f32 v19, null, v9, v9, v16
	v_div_scale_f32 v13, vcc_lo, v15, v7, v15
	s_delay_alu instid0(VALU_DEP_3) | instskip(NEXT) | instid1(VALU_DEP_2)
	v_rcp_f32_e32 v20, v12
	v_rcp_f32_e32 v21, v19
	v_div_scale_f32 v22, s0, v16, v9, v16
	s_delay_alu instid0(TRANS32_DEP_2) | instskip(NEXT) | instid1(TRANS32_DEP_1)
	v_fma_f32 v10, -v12, v20, 1.0
	v_fma_f32 v11, -v19, v21, 1.0
	s_delay_alu instid0(VALU_DEP_1) | instskip(SKIP_2) | instid1(VALU_DEP_1)
	v_dual_fmac_f32 v20, v10, v20 :: v_dual_fmac_f32 v21, v11, v21
	ds_load_2addr_stride64_b32 v[10:11], v5 offset0:4 offset1:8
	v_dual_mul_f32 v23, v13, v20 :: v_dual_mul_f32 v24, v22, v21
	v_dual_fma_f32 v25, -v12, v23, v13 :: v_dual_fma_f32 v26, -v19, v24, v22
	s_delay_alu instid0(VALU_DEP_1) | instskip(NEXT) | instid1(VALU_DEP_1)
	v_dual_fmac_f32 v23, v25, v20 :: v_dual_fmac_f32 v24, v26, v21
	v_fma_f32 v5, -v12, v23, v13
	ds_load_2addr_stride64_b32 v[12:13], v14 offset0:4 offset1:8
	v_fma_f32 v14, -v19, v24, v22
	s_wait_dscnt 0x0
	s_barrier_signal -1
	v_div_fmas_f32 v5, v5, v20, v23
	s_mov_b32 vcc_lo, s0
	s_mov_b32 s0, exec_lo
	v_div_fmas_f32 v14, v14, v21, v24
	s_barrier_wait -1
	v_div_fixup_f32 v5, v5, v7, v15
	s_delay_alu instid0(VALU_DEP_2) | instskip(NEXT) | instid1(VALU_DEP_2)
	v_div_fixup_f32 v7, v14, v9, v16
	v_dual_fma_f32 v9, -v5, v10, v17 :: v_dual_fma_f32 v10, -v5, v11, v18
	s_delay_alu instid0(VALU_DEP_1) | instskip(NEXT) | instid1(VALU_DEP_2)
	v_dual_mul_f32 v5, v5, -v6 :: v_dual_fma_f32 v8, -v7, v8, v9
	v_dual_fma_f32 v9, -v7, v13, v10 :: v_dual_mul_f32 v6, v7, -v12
	ds_store_b32 v4, v8
	ds_store_b32 v2, v9 offset:2048
	ds_store_b32 v2, v5
	ds_store_b32 v3, v6
	s_wait_dscnt 0x0
	s_barrier_signal -1
	s_barrier_wait -1
	v_cmpx_gt_u32_e32 64, v0
	s_cbranch_execz .LBB14_14
; %bb.9:
	v_or_b32_e32 v5, 64, v0
	v_or_b32_e32 v6, 0x800, v2
	s_mov_b32 s1, exec_lo
                                        ; implicit-def: $vgpr7
	s_delay_alu instid0(VALU_DEP_2)
	v_cmpx_le_i32_e64 s3, v5
	s_xor_b32 s1, exec_lo, s1
	s_cbranch_execz .LBB14_11
; %bb.10:
	ds_load_b32 v3, v6
	ds_load_b32 v4, v4
	s_wait_dscnt 0x0
	v_div_scale_f32 v5, null, v4, v4, v3
	s_delay_alu instid0(VALU_DEP_1) | instskip(SKIP_1) | instid1(TRANS32_DEP_1)
	v_rcp_f32_e32 v6, v5
	v_nop
	v_fma_f32 v7, -v5, v6, 1.0
	s_delay_alu instid0(VALU_DEP_1) | instskip(SKIP_1) | instid1(VALU_DEP_1)
	v_fmac_f32_e32 v6, v7, v6
	v_div_scale_f32 v7, vcc_lo, v3, v4, v3
	v_mul_f32_e32 v8, v7, v6
	s_delay_alu instid0(VALU_DEP_1) | instskip(NEXT) | instid1(VALU_DEP_1)
	v_fma_f32 v9, -v5, v8, v7
	v_fmac_f32_e32 v8, v9, v6
	s_delay_alu instid0(VALU_DEP_1) | instskip(NEXT) | instid1(VALU_DEP_1)
	v_fma_f32 v5, -v5, v8, v7
	v_div_fmas_f32 v5, v5, v6, v8
                                        ; implicit-def: $vgpr6
	s_delay_alu instid0(VALU_DEP_1)
	v_div_fixup_f32 v7, v5, v4, v3
                                        ; implicit-def: $vgpr4
                                        ; implicit-def: $vgpr3
                                        ; implicit-def: $vgpr5
.LBB14_11:
	s_and_not1_saveexec_b32 s1, s1
	s_cbranch_execz .LBB14_13
; %bb.12:
	ds_load_2addr_stride64_b32 v[8:9], v4 offset1:1
	ds_load_b32 v0, v2 offset:256
	ds_load_b32 v11, v3
	ds_load_2addr_stride64_b32 v[6:7], v6 offset1:1
	s_wait_dscnt 0x2
	v_dual_mov_b32 v10, v9 :: v_dual_mov_b32 v9, v0
	s_wait_dscnt 0x1
	s_delay_alu instid0(VALU_DEP_1) | instskip(NEXT) | instid1(VALU_DEP_1)
	v_pk_mul_f32 v[12:13], v[10:11], v[8:9]
	v_sub_f32_e32 v0, v12, v13
	s_delay_alu instid0(VALU_DEP_1) | instskip(NEXT) | instid1(VALU_DEP_1)
	v_div_scale_f32 v3, null, v0, v0, 1.0
	v_rcp_f32_e32 v4, v3
	v_nop
	s_delay_alu instid0(TRANS32_DEP_1) | instskip(NEXT) | instid1(VALU_DEP_1)
	v_fma_f32 v12, -v3, v4, 1.0
	v_fmac_f32_e32 v4, v12, v4
	v_div_scale_f32 v13, vcc_lo, 1.0, v0, 1.0
	s_delay_alu instid0(VALU_DEP_1) | instskip(NEXT) | instid1(VALU_DEP_1)
	v_mul_f32_e32 v14, v13, v4
	v_fma_f32 v12, -v3, v14, v13
	s_wait_dscnt 0x0
	s_delay_alu instid0(VALU_DEP_1) | instskip(NEXT) | instid1(VALU_DEP_1)
	v_dual_fmac_f32 v14, v12, v4 :: v_dual_mov_b32 v12, v7
	v_dual_fma_f32 v3, -v3, v14, v13 :: v_dual_mov_b32 v13, v6
	v_pk_mul_f32 v[6:7], v[10:11], v[6:7]
	s_delay_alu instid0(VALU_DEP_2) | instskip(NEXT) | instid1(VALU_DEP_3)
	v_div_fmas_f32 v3, v3, v4, v14
	v_pk_mul_f32 v[8:9], v[8:9], v[12:13]
	s_delay_alu instid0(VALU_DEP_3) | instskip(NEXT) | instid1(VALU_DEP_3)
	v_sub_f32_e32 v4, v6, v7
	v_div_fixup_f32 v0, v3, v0, 1.0
	s_delay_alu instid0(VALU_DEP_3) | instskip(NEXT) | instid1(VALU_DEP_1)
	v_sub_f32_e32 v3, v8, v9
	v_dual_mul_f32 v4, v0, v4 :: v_dual_mul_f32 v7, v0, v3
	v_mov_b32_e32 v0, v5
	ds_store_b32 v2, v4 offset:1536
.LBB14_13:
	s_or_b32 exec_lo, exec_lo, s1
	v_lshlrev_b32_e32 v0, 2, v0
	ds_store_b32 v0, v7 offset:1536
.LBB14_14:
	s_or_b32 exec_lo, exec_lo, s0
	s_wait_dscnt 0x0
	s_barrier_signal -1
	s_barrier_wait -1
	s_and_saveexec_b32 s0, s2
	s_cbranch_execz .LBB14_16
; %bb.15:
	ds_load_b32 v0, v2 offset:1536
	s_wait_dscnt 0x0
	s_wait_kmcnt 0x0
	global_store_b32 v1, v0, s[4:5] scale_offset
.LBB14_16:
	s_endpgm
	.section	.rodata,"a",@progbits
	.p2align	6, 0x0
	.amdhsa_kernel _ZN9rocsparseL44gtsv_nopivot_strided_batch_pcr_shared_kernelILj128EfEEviiiPKT0_S3_S3_PS1_
		.amdhsa_group_segment_fixed_size 2560
		.amdhsa_private_segment_fixed_size 0
		.amdhsa_kernarg_size 48
		.amdhsa_user_sgpr_count 2
		.amdhsa_user_sgpr_dispatch_ptr 0
		.amdhsa_user_sgpr_queue_ptr 0
		.amdhsa_user_sgpr_kernarg_segment_ptr 1
		.amdhsa_user_sgpr_dispatch_id 0
		.amdhsa_user_sgpr_kernarg_preload_length 0
		.amdhsa_user_sgpr_kernarg_preload_offset 0
		.amdhsa_user_sgpr_private_segment_size 0
		.amdhsa_wavefront_size32 1
		.amdhsa_uses_dynamic_stack 0
		.amdhsa_enable_private_segment 0
		.amdhsa_system_sgpr_workgroup_id_x 1
		.amdhsa_system_sgpr_workgroup_id_y 0
		.amdhsa_system_sgpr_workgroup_id_z 0
		.amdhsa_system_sgpr_workgroup_info 0
		.amdhsa_system_vgpr_workitem_id 0
		.amdhsa_next_free_vgpr 27
		.amdhsa_next_free_sgpr 8
		.amdhsa_named_barrier_count 0
		.amdhsa_reserve_vcc 1
		.amdhsa_float_round_mode_32 0
		.amdhsa_float_round_mode_16_64 0
		.amdhsa_float_denorm_mode_32 3
		.amdhsa_float_denorm_mode_16_64 3
		.amdhsa_fp16_overflow 0
		.amdhsa_memory_ordered 1
		.amdhsa_forward_progress 1
		.amdhsa_inst_pref_size 24
		.amdhsa_round_robin_scheduling 0
		.amdhsa_exception_fp_ieee_invalid_op 0
		.amdhsa_exception_fp_denorm_src 0
		.amdhsa_exception_fp_ieee_div_zero 0
		.amdhsa_exception_fp_ieee_overflow 0
		.amdhsa_exception_fp_ieee_underflow 0
		.amdhsa_exception_fp_ieee_inexact 0
		.amdhsa_exception_int_div_zero 0
	.end_amdhsa_kernel
	.section	.text._ZN9rocsparseL44gtsv_nopivot_strided_batch_pcr_shared_kernelILj128EfEEviiiPKT0_S3_S3_PS1_,"axG",@progbits,_ZN9rocsparseL44gtsv_nopivot_strided_batch_pcr_shared_kernelILj128EfEEviiiPKT0_S3_S3_PS1_,comdat
.Lfunc_end14:
	.size	_ZN9rocsparseL44gtsv_nopivot_strided_batch_pcr_shared_kernelILj128EfEEviiiPKT0_S3_S3_PS1_, .Lfunc_end14-_ZN9rocsparseL44gtsv_nopivot_strided_batch_pcr_shared_kernelILj128EfEEviiiPKT0_S3_S3_PS1_
                                        ; -- End function
	.set _ZN9rocsparseL44gtsv_nopivot_strided_batch_pcr_shared_kernelILj128EfEEviiiPKT0_S3_S3_PS1_.num_vgpr, 27
	.set _ZN9rocsparseL44gtsv_nopivot_strided_batch_pcr_shared_kernelILj128EfEEviiiPKT0_S3_S3_PS1_.num_agpr, 0
	.set _ZN9rocsparseL44gtsv_nopivot_strided_batch_pcr_shared_kernelILj128EfEEviiiPKT0_S3_S3_PS1_.numbered_sgpr, 8
	.set _ZN9rocsparseL44gtsv_nopivot_strided_batch_pcr_shared_kernelILj128EfEEviiiPKT0_S3_S3_PS1_.num_named_barrier, 0
	.set _ZN9rocsparseL44gtsv_nopivot_strided_batch_pcr_shared_kernelILj128EfEEviiiPKT0_S3_S3_PS1_.private_seg_size, 0
	.set _ZN9rocsparseL44gtsv_nopivot_strided_batch_pcr_shared_kernelILj128EfEEviiiPKT0_S3_S3_PS1_.uses_vcc, 1
	.set _ZN9rocsparseL44gtsv_nopivot_strided_batch_pcr_shared_kernelILj128EfEEviiiPKT0_S3_S3_PS1_.uses_flat_scratch, 0
	.set _ZN9rocsparseL44gtsv_nopivot_strided_batch_pcr_shared_kernelILj128EfEEviiiPKT0_S3_S3_PS1_.has_dyn_sized_stack, 0
	.set _ZN9rocsparseL44gtsv_nopivot_strided_batch_pcr_shared_kernelILj128EfEEviiiPKT0_S3_S3_PS1_.has_recursion, 0
	.set _ZN9rocsparseL44gtsv_nopivot_strided_batch_pcr_shared_kernelILj128EfEEviiiPKT0_S3_S3_PS1_.has_indirect_call, 0
	.section	.AMDGPU.csdata,"",@progbits
; Kernel info:
; codeLenInByte = 2948
; TotalNumSgprs: 10
; NumVgprs: 27
; ScratchSize: 0
; MemoryBound: 0
; FloatMode: 240
; IeeeMode: 1
; LDSByteSize: 2560 bytes/workgroup (compile time only)
; SGPRBlocks: 0
; VGPRBlocks: 1
; NumSGPRsForWavesPerEU: 10
; NumVGPRsForWavesPerEU: 27
; NamedBarCnt: 0
; Occupancy: 16
; WaveLimiterHint : 0
; COMPUTE_PGM_RSRC2:SCRATCH_EN: 0
; COMPUTE_PGM_RSRC2:USER_SGPR: 2
; COMPUTE_PGM_RSRC2:TRAP_HANDLER: 0
; COMPUTE_PGM_RSRC2:TGID_X_EN: 1
; COMPUTE_PGM_RSRC2:TGID_Y_EN: 0
; COMPUTE_PGM_RSRC2:TGID_Z_EN: 0
; COMPUTE_PGM_RSRC2:TIDIG_COMP_CNT: 0
	.section	.text._ZN9rocsparseL44gtsv_nopivot_strided_batch_pcr_shared_kernelILj256EfEEviiiPKT0_S3_S3_PS1_,"axG",@progbits,_ZN9rocsparseL44gtsv_nopivot_strided_batch_pcr_shared_kernelILj256EfEEviiiPKT0_S3_S3_PS1_,comdat
	.globl	_ZN9rocsparseL44gtsv_nopivot_strided_batch_pcr_shared_kernelILj256EfEEviiiPKT0_S3_S3_PS1_ ; -- Begin function _ZN9rocsparseL44gtsv_nopivot_strided_batch_pcr_shared_kernelILj256EfEEviiiPKT0_S3_S3_PS1_
	.p2align	8
	.type	_ZN9rocsparseL44gtsv_nopivot_strided_batch_pcr_shared_kernelILj256EfEEviiiPKT0_S3_S3_PS1_,@function
_ZN9rocsparseL44gtsv_nopivot_strided_batch_pcr_shared_kernelILj256EfEEviiiPKT0_S3_S3_PS1_: ; @_ZN9rocsparseL44gtsv_nopivot_strided_batch_pcr_shared_kernelILj256EfEEviiiPKT0_S3_S3_PS1_
; %bb.0:
	s_clause 0x1
	s_load_b32 s2, s[0:1], 0x8
	s_load_b32 s3, s[0:1], 0x0
	s_bfe_u32 s4, ttmp6, 0x4000c
	s_and_b32 s5, ttmp6, 15
	s_add_co_i32 s4, s4, 1
	s_getreg_b32 s6, hwreg(HW_REG_IB_STS2, 6, 4)
	s_mul_i32 s4, ttmp9, s4
	v_dual_mov_b32 v3, 0 :: v_dual_mov_b32 v4, 0
	s_add_co_i32 s5, s5, s4
	s_cmp_eq_u32 s6, 0
	s_cselect_b32 s4, ttmp9, s5
	s_wait_kmcnt 0x0
	v_mad_u32 v1, s2, s4, v0
	v_cmp_gt_i32_e64 s2, s3, v0
	s_and_saveexec_b32 s4, s2
	s_cbranch_execz .LBB15_2
; %bb.1:
	s_load_b64 s[6:7], s[0:1], 0x10
	s_wait_kmcnt 0x0
	global_load_b32 v4, v1, s[6:7] scale_offset
.LBB15_2:
	s_wait_xcnt 0x0
	s_or_b32 exec_lo, exec_lo, s4
	v_lshlrev_b32_e32 v2, 2, v0
	s_wait_loadcnt 0x0
	ds_store_b32 v2, v4
	s_and_saveexec_b32 s4, s2
	s_cbranch_execz .LBB15_4
; %bb.3:
	s_load_b64 s[6:7], s[0:1], 0x18
	s_wait_kmcnt 0x0
	global_load_b32 v3, v1, s[6:7] scale_offset
.LBB15_4:
	s_wait_xcnt 0x0
	s_or_b32 exec_lo, exec_lo, s4
	s_load_b64 s[4:5], s[0:1], 0x28
	v_dual_mov_b32 v5, 0 :: v_dual_mov_b32 v6, 0
	s_wait_loadcnt 0x0
	ds_store_b32 v2, v3 offset:1024
	s_and_saveexec_b32 s6, s2
	s_cbranch_execz .LBB15_6
; %bb.5:
	s_wait_xcnt 0x0
	s_load_b64 s[0:1], s[0:1], 0x20
	s_wait_kmcnt 0x0
	global_load_b32 v6, v1, s[0:1] scale_offset
.LBB15_6:
	s_wait_xcnt 0x0
	s_or_b32 exec_lo, exec_lo, s6
	v_or_b32_e32 v4, 0x400, v2
	v_or_b32_e32 v3, 0x800, v2
	s_wait_loadcnt 0x0
	ds_store_b32 v2, v6 offset:2048
	s_and_saveexec_b32 s0, s2
	s_cbranch_execz .LBB15_8
; %bb.7:
	s_wait_kmcnt 0x0
	global_load_b32 v5, v1, s[4:5] scale_offset
.LBB15_8:
	s_wait_xcnt 0x0
	s_or_b32 exec_lo, exec_lo, s0
	s_add_co_i32 s1, s3, -1
	v_sub_nc_u32_e64 v6, v0, 1 clamp
	v_add_min_i32_e64 v7, v0, 1, s1
	s_wait_loadcnt 0x0
	ds_store_b32 v2, v5 offset:4096
	s_wait_dscnt 0x0
	s_barrier_signal -1
	v_dual_lshlrev_b32 v5, 2, v6 :: v_dual_lshlrev_b32 v12, 2, v7
	s_barrier_wait -1
	ds_load_b32 v14, v2
	ds_load_2addr_stride64_b32 v[6:7], v5 offset1:4
	ds_load_2addr_stride64_b32 v[8:9], v12 offset1:4
	ds_load_b32 v15, v3
	ds_load_b32 v16, v4
	ds_load_b32 v17, v2 offset:4096
	s_wait_dscnt 0x4
	v_div_scale_f32 v13, null, v7, v7, v14
	s_wait_dscnt 0x2
	v_div_scale_f32 v18, null, v9, v9, v15
	v_div_scale_f32 v21, vcc_lo, v14, v7, v14
	s_delay_alu instid0(VALU_DEP_3) | instskip(NEXT) | instid1(VALU_DEP_2)
	v_rcp_f32_e32 v19, v13
	v_rcp_f32_e32 v20, v18
	v_div_scale_f32 v22, s0, v15, v9, v15
	s_delay_alu instid0(TRANS32_DEP_2) | instskip(NEXT) | instid1(TRANS32_DEP_1)
	v_fma_f32 v10, -v13, v19, 1.0
	v_fma_f32 v11, -v18, v20, 1.0
	s_delay_alu instid0(VALU_DEP_1) | instskip(SKIP_3) | instid1(VALU_DEP_1)
	v_dual_fmac_f32 v19, v10, v19 :: v_dual_fmac_f32 v20, v11, v20
	ds_load_2addr_stride64_b32 v[10:11], v5 offset0:8 offset1:16
	v_sub_nc_u32_e64 v5, v0, 2 clamp
	v_dual_mul_f32 v23, v21, v19 :: v_dual_mul_f32 v24, v22, v20
	v_dual_fma_f32 v25, -v13, v23, v21 :: v_dual_fma_f32 v26, -v18, v24, v22
	s_delay_alu instid0(VALU_DEP_1) | instskip(NEXT) | instid1(VALU_DEP_1)
	v_dual_fmac_f32 v23, v25, v19 :: v_dual_fmac_f32 v24, v26, v20
	v_dual_fma_f32 v21, -v13, v23, v21 :: v_dual_fma_f32 v18, -v18, v24, v22
	ds_load_2addr_stride64_b32 v[12:13], v12 offset0:8 offset1:16
	s_wait_dscnt 0x0
	s_barrier_signal -1
	v_div_fmas_f32 v19, v21, v19, v23
	s_mov_b32 vcc_lo, s0
	v_add_min_i32_e64 v21, v0, 2, s1
	v_div_fmas_f32 v18, v18, v20, v24
	s_barrier_wait -1
	v_div_fixup_f32 v7, v19, v7, v14
	v_lshlrev_b32_e32 v5, 2, v5
	v_lshlrev_b32_e32 v14, 2, v21
	v_div_fixup_f32 v9, v18, v9, v15
	s_delay_alu instid0(VALU_DEP_4) | instskip(NEXT) | instid1(VALU_DEP_1)
	v_dual_fma_f32 v10, -v7, v10, v16 :: v_dual_fma_f32 v11, -v7, v11, v17
	v_dual_mul_f32 v6, v7, -v6 :: v_dual_fma_f32 v8, -v9, v8, v10
	s_delay_alu instid0(VALU_DEP_2)
	v_dual_fma_f32 v10, -v9, v13, v11 :: v_dual_mul_f32 v7, v9, -v12
	ds_store_b32 v4, v8
	ds_store_b32 v2, v10 offset:4096
	ds_store_b32 v2, v6
	ds_store_b32 v3, v7
	s_wait_dscnt 0x0
	s_barrier_signal -1
	s_barrier_wait -1
	ds_load_b32 v15, v2
	ds_load_2addr_stride64_b32 v[6:7], v5 offset1:4
	ds_load_2addr_stride64_b32 v[8:9], v14 offset1:4
	ds_load_b32 v16, v3
	ds_load_b32 v17, v4
	ds_load_b32 v18, v2 offset:4096
	s_wait_dscnt 0x4
	v_div_scale_f32 v12, null, v7, v7, v15
	s_wait_dscnt 0x2
	v_div_scale_f32 v19, null, v9, v9, v16
	v_div_scale_f32 v13, vcc_lo, v15, v7, v15
	s_delay_alu instid0(VALU_DEP_3) | instskip(NEXT) | instid1(VALU_DEP_2)
	v_rcp_f32_e32 v20, v12
	v_rcp_f32_e32 v21, v19
	v_div_scale_f32 v22, s0, v16, v9, v16
	s_delay_alu instid0(TRANS32_DEP_2) | instskip(NEXT) | instid1(TRANS32_DEP_1)
	v_fma_f32 v10, -v12, v20, 1.0
	v_fma_f32 v11, -v19, v21, 1.0
	s_delay_alu instid0(VALU_DEP_1) | instskip(SKIP_3) | instid1(VALU_DEP_1)
	v_dual_fmac_f32 v20, v10, v20 :: v_dual_fmac_f32 v21, v11, v21
	ds_load_2addr_stride64_b32 v[10:11], v5 offset0:8 offset1:16
	v_sub_nc_u32_e64 v5, v0, 4 clamp
	v_dual_mul_f32 v23, v13, v20 :: v_dual_mul_f32 v24, v22, v21
	v_dual_fma_f32 v25, -v12, v23, v13 :: v_dual_fma_f32 v26, -v19, v24, v22
	s_delay_alu instid0(VALU_DEP_1) | instskip(NEXT) | instid1(VALU_DEP_1)
	v_dual_fmac_f32 v23, v25, v20 :: v_dual_fmac_f32 v24, v26, v21
	v_fma_f32 v25, -v12, v23, v13
	ds_load_2addr_stride64_b32 v[12:13], v14 offset0:8 offset1:16
	v_fma_f32 v14, -v19, v24, v22
	s_wait_dscnt 0x0
	s_barrier_signal -1
	v_div_fmas_f32 v19, v25, v20, v23
	s_mov_b32 vcc_lo, s0
	v_add_min_i32_e64 v20, v0, 4, s1
	v_div_fmas_f32 v14, v14, v21, v24
	v_lshlrev_b32_e32 v5, 2, v5
	v_div_fixup_f32 v7, v19, v7, v15
	s_barrier_wait -1
	v_lshlrev_b32_e32 v15, 2, v20
	v_div_fixup_f32 v9, v14, v9, v16
	s_delay_alu instid0(VALU_DEP_3) | instskip(NEXT) | instid1(VALU_DEP_1)
	v_dual_fma_f32 v10, -v7, v10, v17 :: v_dual_fma_f32 v11, -v7, v11, v18
	v_dual_mul_f32 v6, v7, -v6 :: v_dual_fma_f32 v8, -v9, v8, v10
	s_delay_alu instid0(VALU_DEP_2)
	v_dual_fma_f32 v10, -v9, v13, v11 :: v_dual_mul_f32 v7, v9, -v12
	ds_store_b32 v4, v8
	ds_store_b32 v2, v10 offset:4096
	ds_store_b32 v2, v6
	ds_store_b32 v3, v7
	s_wait_dscnt 0x0
	s_barrier_signal -1
	s_barrier_wait -1
	ds_load_b32 v14, v2
	ds_load_2addr_stride64_b32 v[6:7], v5 offset1:4
	ds_load_2addr_stride64_b32 v[8:9], v15 offset1:4
	ds_load_b32 v16, v3
	ds_load_b32 v17, v4
	ds_load_b32 v18, v2 offset:4096
	s_wait_dscnt 0x4
	v_div_scale_f32 v12, null, v7, v7, v14
	s_wait_dscnt 0x2
	v_div_scale_f32 v19, null, v9, v9, v16
	v_div_scale_f32 v13, vcc_lo, v14, v7, v14
	s_delay_alu instid0(VALU_DEP_3) | instskip(NEXT) | instid1(VALU_DEP_2)
	v_rcp_f32_e32 v20, v12
	v_rcp_f32_e32 v21, v19
	v_div_scale_f32 v22, s0, v16, v9, v16
	s_delay_alu instid0(TRANS32_DEP_2) | instskip(NEXT) | instid1(TRANS32_DEP_1)
	v_fma_f32 v10, -v12, v20, 1.0
	v_fma_f32 v11, -v19, v21, 1.0
	s_delay_alu instid0(VALU_DEP_1) | instskip(SKIP_3) | instid1(VALU_DEP_1)
	v_dual_fmac_f32 v20, v10, v20 :: v_dual_fmac_f32 v21, v11, v21
	ds_load_2addr_stride64_b32 v[10:11], v5 offset0:8 offset1:16
	v_sub_nc_u32_e64 v5, v0, 8 clamp
	v_dual_mul_f32 v23, v13, v20 :: v_dual_mul_f32 v24, v22, v21
	v_dual_fma_f32 v25, -v12, v23, v13 :: v_dual_fma_f32 v26, -v19, v24, v22
	s_delay_alu instid0(VALU_DEP_1) | instskip(NEXT) | instid1(VALU_DEP_1)
	v_dual_fmac_f32 v23, v25, v20 :: v_dual_fmac_f32 v24, v26, v21
	v_fma_f32 v25, -v12, v23, v13
	ds_load_2addr_stride64_b32 v[12:13], v15 offset0:8 offset1:16
	v_fma_f32 v15, -v19, v24, v22
	s_wait_dscnt 0x0
	s_barrier_signal -1
	v_div_fmas_f32 v19, v25, v20, v23
	s_mov_b32 vcc_lo, s0
	v_add_min_i32_e64 v20, v0, 8, s1
	v_div_fmas_f32 v15, v15, v21, v24
	v_lshlrev_b32_e32 v5, 2, v5
	v_div_fixup_f32 v7, v19, v7, v14
	s_barrier_wait -1
	v_lshlrev_b32_e32 v14, 2, v20
	v_div_fixup_f32 v9, v15, v9, v16
	s_delay_alu instid0(VALU_DEP_3) | instskip(NEXT) | instid1(VALU_DEP_1)
	;; [unrolled: 52-line block ×5, first 2 shown]
	v_dual_fma_f32 v10, -v7, v10, v17 :: v_dual_fma_f32 v11, -v7, v11, v18
	v_dual_mul_f32 v6, v7, -v6 :: v_dual_fma_f32 v8, -v9, v8, v10
	s_delay_alu instid0(VALU_DEP_2)
	v_dual_fma_f32 v10, -v9, v13, v11 :: v_dual_mul_f32 v7, v9, -v12
	ds_store_b32 v4, v8
	ds_store_b32 v2, v10 offset:4096
	ds_store_b32 v2, v6
	ds_store_b32 v3, v7
	s_wait_dscnt 0x0
	s_barrier_signal -1
	s_barrier_wait -1
	ds_load_b32 v14, v2
	ds_load_2addr_stride64_b32 v[6:7], v5 offset1:4
	ds_load_2addr_stride64_b32 v[8:9], v15 offset1:4
	ds_load_b32 v16, v3
	ds_load_b32 v17, v4
	ds_load_b32 v18, v2 offset:4096
	s_wait_dscnt 0x4
	v_div_scale_f32 v12, null, v7, v7, v14
	s_wait_dscnt 0x2
	v_div_scale_f32 v19, null, v9, v9, v16
	v_div_scale_f32 v13, vcc_lo, v14, v7, v14
	s_delay_alu instid0(VALU_DEP_3) | instskip(NEXT) | instid1(VALU_DEP_2)
	v_rcp_f32_e32 v20, v12
	v_rcp_f32_e32 v21, v19
	v_div_scale_f32 v22, s0, v16, v9, v16
	s_delay_alu instid0(TRANS32_DEP_2) | instskip(NEXT) | instid1(TRANS32_DEP_1)
	v_fma_f32 v10, -v12, v20, 1.0
	v_fma_f32 v11, -v19, v21, 1.0
	s_delay_alu instid0(VALU_DEP_1) | instskip(SKIP_2) | instid1(VALU_DEP_1)
	v_dual_fmac_f32 v20, v10, v20 :: v_dual_fmac_f32 v21, v11, v21
	ds_load_2addr_stride64_b32 v[10:11], v5 offset0:8 offset1:16
	v_dual_mul_f32 v23, v13, v20 :: v_dual_mul_f32 v24, v22, v21
	v_dual_fma_f32 v25, -v12, v23, v13 :: v_dual_fma_f32 v26, -v19, v24, v22
	s_delay_alu instid0(VALU_DEP_1) | instskip(NEXT) | instid1(VALU_DEP_1)
	v_dual_fmac_f32 v23, v25, v20 :: v_dual_fmac_f32 v24, v26, v21
	v_fma_f32 v5, -v12, v23, v13
	ds_load_2addr_stride64_b32 v[12:13], v15 offset0:8 offset1:16
	v_fma_f32 v15, -v19, v24, v22
	s_wait_dscnt 0x0
	s_barrier_signal -1
	v_div_fmas_f32 v5, v5, v20, v23
	s_mov_b32 vcc_lo, s0
	s_mov_b32 s0, exec_lo
	v_div_fmas_f32 v15, v15, v21, v24
	s_barrier_wait -1
	v_div_fixup_f32 v5, v5, v7, v14
	s_delay_alu instid0(VALU_DEP_2) | instskip(NEXT) | instid1(VALU_DEP_2)
	v_div_fixup_f32 v7, v15, v9, v16
	v_dual_fma_f32 v9, -v5, v10, v17 :: v_dual_fma_f32 v10, -v5, v11, v18
	s_delay_alu instid0(VALU_DEP_1) | instskip(NEXT) | instid1(VALU_DEP_2)
	v_dual_mul_f32 v5, v5, -v6 :: v_dual_fma_f32 v8, -v7, v8, v9
	v_dual_fma_f32 v9, -v7, v13, v10 :: v_dual_mul_f32 v6, v7, -v12
	ds_store_b32 v4, v8
	ds_store_b32 v2, v9 offset:4096
	ds_store_b32 v2, v5
	ds_store_b32 v3, v6
	s_wait_dscnt 0x0
	s_barrier_signal -1
	s_barrier_wait -1
	v_cmpx_gt_u32_e32 0x80, v0
	s_cbranch_execz .LBB15_14
; %bb.9:
	v_or_b32_e32 v5, 0x80, v0
	v_or_b32_e32 v6, 0x1000, v2
	s_mov_b32 s1, exec_lo
                                        ; implicit-def: $vgpr7
	s_delay_alu instid0(VALU_DEP_2)
	v_cmpx_le_i32_e64 s3, v5
	s_xor_b32 s1, exec_lo, s1
	s_cbranch_execz .LBB15_11
; %bb.10:
	ds_load_b32 v3, v6
	ds_load_b32 v4, v4
	s_wait_dscnt 0x0
	v_div_scale_f32 v5, null, v4, v4, v3
	s_delay_alu instid0(VALU_DEP_1) | instskip(SKIP_1) | instid1(TRANS32_DEP_1)
	v_rcp_f32_e32 v6, v5
	v_nop
	v_fma_f32 v7, -v5, v6, 1.0
	s_delay_alu instid0(VALU_DEP_1) | instskip(SKIP_1) | instid1(VALU_DEP_1)
	v_fmac_f32_e32 v6, v7, v6
	v_div_scale_f32 v7, vcc_lo, v3, v4, v3
	v_mul_f32_e32 v8, v7, v6
	s_delay_alu instid0(VALU_DEP_1) | instskip(NEXT) | instid1(VALU_DEP_1)
	v_fma_f32 v9, -v5, v8, v7
	v_fmac_f32_e32 v8, v9, v6
	s_delay_alu instid0(VALU_DEP_1) | instskip(NEXT) | instid1(VALU_DEP_1)
	v_fma_f32 v5, -v5, v8, v7
	v_div_fmas_f32 v5, v5, v6, v8
                                        ; implicit-def: $vgpr6
	s_delay_alu instid0(VALU_DEP_1)
	v_div_fixup_f32 v7, v5, v4, v3
                                        ; implicit-def: $vgpr4
                                        ; implicit-def: $vgpr3
                                        ; implicit-def: $vgpr5
.LBB15_11:
	s_and_not1_saveexec_b32 s1, s1
	s_cbranch_execz .LBB15_13
; %bb.12:
	ds_load_2addr_stride64_b32 v[8:9], v4 offset1:2
	ds_load_b32 v0, v2 offset:512
	ds_load_b32 v11, v3
	ds_load_2addr_stride64_b32 v[6:7], v6 offset1:2
	s_wait_dscnt 0x2
	v_dual_mov_b32 v10, v9 :: v_dual_mov_b32 v9, v0
	s_wait_dscnt 0x1
	s_delay_alu instid0(VALU_DEP_1) | instskip(NEXT) | instid1(VALU_DEP_1)
	v_pk_mul_f32 v[12:13], v[10:11], v[8:9]
	v_sub_f32_e32 v0, v12, v13
	s_delay_alu instid0(VALU_DEP_1) | instskip(NEXT) | instid1(VALU_DEP_1)
	v_div_scale_f32 v3, null, v0, v0, 1.0
	v_rcp_f32_e32 v4, v3
	v_nop
	s_delay_alu instid0(TRANS32_DEP_1) | instskip(NEXT) | instid1(VALU_DEP_1)
	v_fma_f32 v12, -v3, v4, 1.0
	v_fmac_f32_e32 v4, v12, v4
	v_div_scale_f32 v13, vcc_lo, 1.0, v0, 1.0
	s_delay_alu instid0(VALU_DEP_1) | instskip(NEXT) | instid1(VALU_DEP_1)
	v_mul_f32_e32 v14, v13, v4
	v_fma_f32 v12, -v3, v14, v13
	s_wait_dscnt 0x0
	s_delay_alu instid0(VALU_DEP_1) | instskip(NEXT) | instid1(VALU_DEP_1)
	v_dual_fmac_f32 v14, v12, v4 :: v_dual_mov_b32 v12, v7
	v_dual_fma_f32 v3, -v3, v14, v13 :: v_dual_mov_b32 v13, v6
	v_pk_mul_f32 v[6:7], v[10:11], v[6:7]
	s_delay_alu instid0(VALU_DEP_2) | instskip(NEXT) | instid1(VALU_DEP_3)
	v_div_fmas_f32 v3, v3, v4, v14
	v_pk_mul_f32 v[8:9], v[8:9], v[12:13]
	s_delay_alu instid0(VALU_DEP_3) | instskip(NEXT) | instid1(VALU_DEP_3)
	v_sub_f32_e32 v4, v6, v7
	v_div_fixup_f32 v0, v3, v0, 1.0
	s_delay_alu instid0(VALU_DEP_3) | instskip(NEXT) | instid1(VALU_DEP_1)
	v_sub_f32_e32 v3, v8, v9
	v_dual_mul_f32 v4, v0, v4 :: v_dual_mul_f32 v7, v0, v3
	v_mov_b32_e32 v0, v5
	ds_store_b32 v2, v4 offset:3072
.LBB15_13:
	s_or_b32 exec_lo, exec_lo, s1
	v_lshlrev_b32_e32 v0, 2, v0
	ds_store_b32 v0, v7 offset:3072
.LBB15_14:
	s_or_b32 exec_lo, exec_lo, s0
	s_wait_dscnt 0x0
	s_barrier_signal -1
	s_barrier_wait -1
	s_and_saveexec_b32 s0, s2
	s_cbranch_execz .LBB15_16
; %bb.15:
	ds_load_b32 v0, v2 offset:3072
	s_wait_dscnt 0x0
	s_wait_kmcnt 0x0
	global_store_b32 v1, v0, s[4:5] scale_offset
.LBB15_16:
	s_endpgm
	.section	.rodata,"a",@progbits
	.p2align	6, 0x0
	.amdhsa_kernel _ZN9rocsparseL44gtsv_nopivot_strided_batch_pcr_shared_kernelILj256EfEEviiiPKT0_S3_S3_PS1_
		.amdhsa_group_segment_fixed_size 5120
		.amdhsa_private_segment_fixed_size 0
		.amdhsa_kernarg_size 48
		.amdhsa_user_sgpr_count 2
		.amdhsa_user_sgpr_dispatch_ptr 0
		.amdhsa_user_sgpr_queue_ptr 0
		.amdhsa_user_sgpr_kernarg_segment_ptr 1
		.amdhsa_user_sgpr_dispatch_id 0
		.amdhsa_user_sgpr_kernarg_preload_length 0
		.amdhsa_user_sgpr_kernarg_preload_offset 0
		.amdhsa_user_sgpr_private_segment_size 0
		.amdhsa_wavefront_size32 1
		.amdhsa_uses_dynamic_stack 0
		.amdhsa_enable_private_segment 0
		.amdhsa_system_sgpr_workgroup_id_x 1
		.amdhsa_system_sgpr_workgroup_id_y 0
		.amdhsa_system_sgpr_workgroup_id_z 0
		.amdhsa_system_sgpr_workgroup_info 0
		.amdhsa_system_vgpr_workitem_id 0
		.amdhsa_next_free_vgpr 27
		.amdhsa_next_free_sgpr 8
		.amdhsa_named_barrier_count 0
		.amdhsa_reserve_vcc 1
		.amdhsa_float_round_mode_32 0
		.amdhsa_float_round_mode_16_64 0
		.amdhsa_float_denorm_mode_32 3
		.amdhsa_float_denorm_mode_16_64 3
		.amdhsa_fp16_overflow 0
		.amdhsa_memory_ordered 1
		.amdhsa_forward_progress 1
		.amdhsa_inst_pref_size 26
		.amdhsa_round_robin_scheduling 0
		.amdhsa_exception_fp_ieee_invalid_op 0
		.amdhsa_exception_fp_denorm_src 0
		.amdhsa_exception_fp_ieee_div_zero 0
		.amdhsa_exception_fp_ieee_overflow 0
		.amdhsa_exception_fp_ieee_underflow 0
		.amdhsa_exception_fp_ieee_inexact 0
		.amdhsa_exception_int_div_zero 0
	.end_amdhsa_kernel
	.section	.text._ZN9rocsparseL44gtsv_nopivot_strided_batch_pcr_shared_kernelILj256EfEEviiiPKT0_S3_S3_PS1_,"axG",@progbits,_ZN9rocsparseL44gtsv_nopivot_strided_batch_pcr_shared_kernelILj256EfEEviiiPKT0_S3_S3_PS1_,comdat
.Lfunc_end15:
	.size	_ZN9rocsparseL44gtsv_nopivot_strided_batch_pcr_shared_kernelILj256EfEEviiiPKT0_S3_S3_PS1_, .Lfunc_end15-_ZN9rocsparseL44gtsv_nopivot_strided_batch_pcr_shared_kernelILj256EfEEviiiPKT0_S3_S3_PS1_
                                        ; -- End function
	.set _ZN9rocsparseL44gtsv_nopivot_strided_batch_pcr_shared_kernelILj256EfEEviiiPKT0_S3_S3_PS1_.num_vgpr, 27
	.set _ZN9rocsparseL44gtsv_nopivot_strided_batch_pcr_shared_kernelILj256EfEEviiiPKT0_S3_S3_PS1_.num_agpr, 0
	.set _ZN9rocsparseL44gtsv_nopivot_strided_batch_pcr_shared_kernelILj256EfEEviiiPKT0_S3_S3_PS1_.numbered_sgpr, 8
	.set _ZN9rocsparseL44gtsv_nopivot_strided_batch_pcr_shared_kernelILj256EfEEviiiPKT0_S3_S3_PS1_.num_named_barrier, 0
	.set _ZN9rocsparseL44gtsv_nopivot_strided_batch_pcr_shared_kernelILj256EfEEviiiPKT0_S3_S3_PS1_.private_seg_size, 0
	.set _ZN9rocsparseL44gtsv_nopivot_strided_batch_pcr_shared_kernelILj256EfEEviiiPKT0_S3_S3_PS1_.uses_vcc, 1
	.set _ZN9rocsparseL44gtsv_nopivot_strided_batch_pcr_shared_kernelILj256EfEEviiiPKT0_S3_S3_PS1_.uses_flat_scratch, 0
	.set _ZN9rocsparseL44gtsv_nopivot_strided_batch_pcr_shared_kernelILj256EfEEviiiPKT0_S3_S3_PS1_.has_dyn_sized_stack, 0
	.set _ZN9rocsparseL44gtsv_nopivot_strided_batch_pcr_shared_kernelILj256EfEEviiiPKT0_S3_S3_PS1_.has_recursion, 0
	.set _ZN9rocsparseL44gtsv_nopivot_strided_batch_pcr_shared_kernelILj256EfEEviiiPKT0_S3_S3_PS1_.has_indirect_call, 0
	.section	.AMDGPU.csdata,"",@progbits
; Kernel info:
; codeLenInByte = 3312
; TotalNumSgprs: 10
; NumVgprs: 27
; ScratchSize: 0
; MemoryBound: 0
; FloatMode: 240
; IeeeMode: 1
; LDSByteSize: 5120 bytes/workgroup (compile time only)
; SGPRBlocks: 0
; VGPRBlocks: 1
; NumSGPRsForWavesPerEU: 10
; NumVGPRsForWavesPerEU: 27
; NamedBarCnt: 0
; Occupancy: 16
; WaveLimiterHint : 0
; COMPUTE_PGM_RSRC2:SCRATCH_EN: 0
; COMPUTE_PGM_RSRC2:USER_SGPR: 2
; COMPUTE_PGM_RSRC2:TRAP_HANDLER: 0
; COMPUTE_PGM_RSRC2:TGID_X_EN: 1
; COMPUTE_PGM_RSRC2:TGID_Y_EN: 0
; COMPUTE_PGM_RSRC2:TGID_Z_EN: 0
; COMPUTE_PGM_RSRC2:TIDIG_COMP_CNT: 0
	.section	.text._ZN9rocsparseL44gtsv_nopivot_strided_batch_pcr_shared_kernelILj512EfEEviiiPKT0_S3_S3_PS1_,"axG",@progbits,_ZN9rocsparseL44gtsv_nopivot_strided_batch_pcr_shared_kernelILj512EfEEviiiPKT0_S3_S3_PS1_,comdat
	.globl	_ZN9rocsparseL44gtsv_nopivot_strided_batch_pcr_shared_kernelILj512EfEEviiiPKT0_S3_S3_PS1_ ; -- Begin function _ZN9rocsparseL44gtsv_nopivot_strided_batch_pcr_shared_kernelILj512EfEEviiiPKT0_S3_S3_PS1_
	.p2align	8
	.type	_ZN9rocsparseL44gtsv_nopivot_strided_batch_pcr_shared_kernelILj512EfEEviiiPKT0_S3_S3_PS1_,@function
_ZN9rocsparseL44gtsv_nopivot_strided_batch_pcr_shared_kernelILj512EfEEviiiPKT0_S3_S3_PS1_: ; @_ZN9rocsparseL44gtsv_nopivot_strided_batch_pcr_shared_kernelILj512EfEEviiiPKT0_S3_S3_PS1_
; %bb.0:
	s_clause 0x1
	s_load_b32 s2, s[0:1], 0x8
	s_load_b32 s3, s[0:1], 0x0
	s_bfe_u32 s4, ttmp6, 0x4000c
	s_and_b32 s5, ttmp6, 15
	s_add_co_i32 s4, s4, 1
	s_getreg_b32 s6, hwreg(HW_REG_IB_STS2, 6, 4)
	s_mul_i32 s4, ttmp9, s4
	v_dual_mov_b32 v3, 0 :: v_dual_mov_b32 v4, 0
	s_add_co_i32 s5, s5, s4
	s_cmp_eq_u32 s6, 0
	s_cselect_b32 s4, ttmp9, s5
	s_wait_kmcnt 0x0
	v_mad_u32 v1, s2, s4, v0
	v_cmp_gt_i32_e64 s2, s3, v0
	s_and_saveexec_b32 s4, s2
	s_cbranch_execz .LBB16_2
; %bb.1:
	s_load_b64 s[6:7], s[0:1], 0x10
	s_wait_kmcnt 0x0
	global_load_b32 v4, v1, s[6:7] scale_offset
.LBB16_2:
	s_wait_xcnt 0x0
	s_or_b32 exec_lo, exec_lo, s4
	v_lshlrev_b32_e32 v2, 2, v0
	s_wait_loadcnt 0x0
	ds_store_b32 v2, v4
	s_and_saveexec_b32 s4, s2
	s_cbranch_execz .LBB16_4
; %bb.3:
	s_load_b64 s[6:7], s[0:1], 0x18
	s_wait_kmcnt 0x0
	global_load_b32 v3, v1, s[6:7] scale_offset
.LBB16_4:
	s_wait_xcnt 0x0
	s_or_b32 exec_lo, exec_lo, s4
	s_load_b64 s[4:5], s[0:1], 0x28
	v_dual_mov_b32 v5, 0 :: v_dual_mov_b32 v6, 0
	s_wait_loadcnt 0x0
	ds_store_b32 v2, v3 offset:2048
	s_and_saveexec_b32 s6, s2
	s_cbranch_execz .LBB16_6
; %bb.5:
	s_wait_xcnt 0x0
	s_load_b64 s[0:1], s[0:1], 0x20
	s_wait_kmcnt 0x0
	global_load_b32 v6, v1, s[0:1] scale_offset
.LBB16_6:
	s_wait_xcnt 0x0
	s_or_b32 exec_lo, exec_lo, s6
	v_or_b32_e32 v4, 0x800, v2
	v_or_b32_e32 v3, 0x1000, v2
	s_wait_loadcnt 0x0
	ds_store_b32 v2, v6 offset:4096
	s_and_saveexec_b32 s0, s2
	s_cbranch_execz .LBB16_8
; %bb.7:
	s_wait_kmcnt 0x0
	global_load_b32 v5, v1, s[4:5] scale_offset
.LBB16_8:
	s_wait_xcnt 0x0
	s_or_b32 exec_lo, exec_lo, s0
	s_add_co_i32 s1, s3, -1
	v_sub_nc_u32_e64 v6, v0, 1 clamp
	v_add_min_i32_e64 v7, v0, 1, s1
	s_wait_loadcnt 0x0
	ds_store_b32 v2, v5 offset:8192
	s_wait_dscnt 0x0
	s_barrier_signal -1
	v_dual_lshlrev_b32 v5, 2, v6 :: v_dual_lshlrev_b32 v12, 2, v7
	s_barrier_wait -1
	ds_load_b32 v14, v2
	ds_load_2addr_stride64_b32 v[6:7], v5 offset1:8
	ds_load_2addr_stride64_b32 v[8:9], v12 offset1:8
	ds_load_b32 v15, v3
	ds_load_b32 v16, v4
	ds_load_b32 v17, v2 offset:8192
	s_wait_dscnt 0x4
	v_div_scale_f32 v13, null, v7, v7, v14
	s_wait_dscnt 0x2
	v_div_scale_f32 v18, null, v9, v9, v15
	v_div_scale_f32 v21, vcc_lo, v14, v7, v14
	s_delay_alu instid0(VALU_DEP_3) | instskip(NEXT) | instid1(VALU_DEP_2)
	v_rcp_f32_e32 v19, v13
	v_rcp_f32_e32 v20, v18
	v_div_scale_f32 v22, s0, v15, v9, v15
	s_delay_alu instid0(TRANS32_DEP_2) | instskip(NEXT) | instid1(TRANS32_DEP_1)
	v_fma_f32 v10, -v13, v19, 1.0
	v_fma_f32 v11, -v18, v20, 1.0
	s_delay_alu instid0(VALU_DEP_1) | instskip(SKIP_3) | instid1(VALU_DEP_1)
	v_dual_fmac_f32 v19, v10, v19 :: v_dual_fmac_f32 v20, v11, v20
	ds_load_2addr_stride64_b32 v[10:11], v5 offset0:16 offset1:32
	v_sub_nc_u32_e64 v5, v0, 2 clamp
	v_dual_mul_f32 v23, v21, v19 :: v_dual_mul_f32 v24, v22, v20
	v_dual_fma_f32 v25, -v13, v23, v21 :: v_dual_fma_f32 v26, -v18, v24, v22
	s_delay_alu instid0(VALU_DEP_1) | instskip(NEXT) | instid1(VALU_DEP_1)
	v_dual_fmac_f32 v23, v25, v19 :: v_dual_fmac_f32 v24, v26, v20
	v_dual_fma_f32 v21, -v13, v23, v21 :: v_dual_fma_f32 v18, -v18, v24, v22
	ds_load_2addr_stride64_b32 v[12:13], v12 offset0:16 offset1:32
	s_wait_dscnt 0x0
	s_barrier_signal -1
	v_div_fmas_f32 v19, v21, v19, v23
	s_mov_b32 vcc_lo, s0
	v_add_min_i32_e64 v21, v0, 2, s1
	v_div_fmas_f32 v18, v18, v20, v24
	s_barrier_wait -1
	v_div_fixup_f32 v7, v19, v7, v14
	v_lshlrev_b32_e32 v5, 2, v5
	v_lshlrev_b32_e32 v14, 2, v21
	v_div_fixup_f32 v9, v18, v9, v15
	s_delay_alu instid0(VALU_DEP_4) | instskip(NEXT) | instid1(VALU_DEP_1)
	v_dual_fma_f32 v10, -v7, v10, v16 :: v_dual_fma_f32 v11, -v7, v11, v17
	v_dual_mul_f32 v6, v7, -v6 :: v_dual_fma_f32 v8, -v9, v8, v10
	s_delay_alu instid0(VALU_DEP_2)
	v_dual_fma_f32 v10, -v9, v13, v11 :: v_dual_mul_f32 v7, v9, -v12
	ds_store_b32 v4, v8
	ds_store_b32 v2, v10 offset:8192
	ds_store_b32 v2, v6
	ds_store_b32 v3, v7
	s_wait_dscnt 0x0
	s_barrier_signal -1
	s_barrier_wait -1
	ds_load_b32 v15, v2
	ds_load_2addr_stride64_b32 v[6:7], v5 offset1:8
	ds_load_2addr_stride64_b32 v[8:9], v14 offset1:8
	ds_load_b32 v16, v3
	ds_load_b32 v17, v4
	ds_load_b32 v18, v2 offset:8192
	s_wait_dscnt 0x4
	v_div_scale_f32 v12, null, v7, v7, v15
	s_wait_dscnt 0x2
	v_div_scale_f32 v19, null, v9, v9, v16
	v_div_scale_f32 v13, vcc_lo, v15, v7, v15
	s_delay_alu instid0(VALU_DEP_3) | instskip(NEXT) | instid1(VALU_DEP_2)
	v_rcp_f32_e32 v20, v12
	v_rcp_f32_e32 v21, v19
	v_div_scale_f32 v22, s0, v16, v9, v16
	s_delay_alu instid0(TRANS32_DEP_2) | instskip(NEXT) | instid1(TRANS32_DEP_1)
	v_fma_f32 v10, -v12, v20, 1.0
	v_fma_f32 v11, -v19, v21, 1.0
	s_delay_alu instid0(VALU_DEP_1) | instskip(SKIP_3) | instid1(VALU_DEP_1)
	v_dual_fmac_f32 v20, v10, v20 :: v_dual_fmac_f32 v21, v11, v21
	ds_load_2addr_stride64_b32 v[10:11], v5 offset0:16 offset1:32
	v_sub_nc_u32_e64 v5, v0, 4 clamp
	v_dual_mul_f32 v23, v13, v20 :: v_dual_mul_f32 v24, v22, v21
	v_dual_fma_f32 v25, -v12, v23, v13 :: v_dual_fma_f32 v26, -v19, v24, v22
	s_delay_alu instid0(VALU_DEP_1) | instskip(NEXT) | instid1(VALU_DEP_1)
	v_dual_fmac_f32 v23, v25, v20 :: v_dual_fmac_f32 v24, v26, v21
	v_fma_f32 v25, -v12, v23, v13
	ds_load_2addr_stride64_b32 v[12:13], v14 offset0:16 offset1:32
	v_fma_f32 v14, -v19, v24, v22
	s_wait_dscnt 0x0
	s_barrier_signal -1
	v_div_fmas_f32 v19, v25, v20, v23
	s_mov_b32 vcc_lo, s0
	v_add_min_i32_e64 v20, v0, 4, s1
	v_div_fmas_f32 v14, v14, v21, v24
	v_lshlrev_b32_e32 v5, 2, v5
	v_div_fixup_f32 v7, v19, v7, v15
	s_barrier_wait -1
	v_lshlrev_b32_e32 v15, 2, v20
	v_div_fixup_f32 v9, v14, v9, v16
	s_delay_alu instid0(VALU_DEP_3) | instskip(NEXT) | instid1(VALU_DEP_1)
	v_dual_fma_f32 v10, -v7, v10, v17 :: v_dual_fma_f32 v11, -v7, v11, v18
	v_dual_mul_f32 v6, v7, -v6 :: v_dual_fma_f32 v8, -v9, v8, v10
	s_delay_alu instid0(VALU_DEP_2)
	v_dual_fma_f32 v10, -v9, v13, v11 :: v_dual_mul_f32 v7, v9, -v12
	ds_store_b32 v4, v8
	ds_store_b32 v2, v10 offset:8192
	ds_store_b32 v2, v6
	ds_store_b32 v3, v7
	s_wait_dscnt 0x0
	s_barrier_signal -1
	s_barrier_wait -1
	ds_load_b32 v14, v2
	ds_load_2addr_stride64_b32 v[6:7], v5 offset1:8
	ds_load_2addr_stride64_b32 v[8:9], v15 offset1:8
	ds_load_b32 v16, v3
	ds_load_b32 v17, v4
	ds_load_b32 v18, v2 offset:8192
	s_wait_dscnt 0x4
	v_div_scale_f32 v12, null, v7, v7, v14
	s_wait_dscnt 0x2
	v_div_scale_f32 v19, null, v9, v9, v16
	v_div_scale_f32 v13, vcc_lo, v14, v7, v14
	s_delay_alu instid0(VALU_DEP_3) | instskip(NEXT) | instid1(VALU_DEP_2)
	v_rcp_f32_e32 v20, v12
	v_rcp_f32_e32 v21, v19
	v_div_scale_f32 v22, s0, v16, v9, v16
	s_delay_alu instid0(TRANS32_DEP_2) | instskip(NEXT) | instid1(TRANS32_DEP_1)
	v_fma_f32 v10, -v12, v20, 1.0
	v_fma_f32 v11, -v19, v21, 1.0
	s_delay_alu instid0(VALU_DEP_1) | instskip(SKIP_3) | instid1(VALU_DEP_1)
	v_dual_fmac_f32 v20, v10, v20 :: v_dual_fmac_f32 v21, v11, v21
	ds_load_2addr_stride64_b32 v[10:11], v5 offset0:16 offset1:32
	v_sub_nc_u32_e64 v5, v0, 8 clamp
	v_dual_mul_f32 v23, v13, v20 :: v_dual_mul_f32 v24, v22, v21
	v_dual_fma_f32 v25, -v12, v23, v13 :: v_dual_fma_f32 v26, -v19, v24, v22
	s_delay_alu instid0(VALU_DEP_1) | instskip(NEXT) | instid1(VALU_DEP_1)
	v_dual_fmac_f32 v23, v25, v20 :: v_dual_fmac_f32 v24, v26, v21
	v_fma_f32 v25, -v12, v23, v13
	ds_load_2addr_stride64_b32 v[12:13], v15 offset0:16 offset1:32
	v_fma_f32 v15, -v19, v24, v22
	s_wait_dscnt 0x0
	s_barrier_signal -1
	v_div_fmas_f32 v19, v25, v20, v23
	s_mov_b32 vcc_lo, s0
	v_add_min_i32_e64 v20, v0, 8, s1
	v_div_fmas_f32 v15, v15, v21, v24
	v_lshlrev_b32_e32 v5, 2, v5
	v_div_fixup_f32 v7, v19, v7, v14
	s_barrier_wait -1
	v_lshlrev_b32_e32 v14, 2, v20
	v_div_fixup_f32 v9, v15, v9, v16
	s_delay_alu instid0(VALU_DEP_3) | instskip(NEXT) | instid1(VALU_DEP_1)
	;; [unrolled: 52-line block ×5, first 2 shown]
	v_dual_fma_f32 v10, -v7, v10, v17 :: v_dual_fma_f32 v11, -v7, v11, v18
	v_dual_mul_f32 v6, v7, -v6 :: v_dual_fma_f32 v8, -v9, v8, v10
	s_delay_alu instid0(VALU_DEP_2)
	v_dual_fma_f32 v10, -v9, v13, v11 :: v_dual_mul_f32 v7, v9, -v12
	ds_store_b32 v4, v8
	ds_store_b32 v2, v10 offset:8192
	ds_store_b32 v2, v6
	ds_store_b32 v3, v7
	s_wait_dscnt 0x0
	s_barrier_signal -1
	s_barrier_wait -1
	ds_load_b32 v14, v2
	ds_load_2addr_stride64_b32 v[6:7], v5 offset1:8
	ds_load_2addr_stride64_b32 v[8:9], v15 offset1:8
	ds_load_b32 v16, v3
	ds_load_b32 v17, v4
	ds_load_b32 v18, v2 offset:8192
	s_wait_dscnt 0x4
	v_div_scale_f32 v12, null, v7, v7, v14
	s_wait_dscnt 0x2
	v_div_scale_f32 v19, null, v9, v9, v16
	v_div_scale_f32 v13, vcc_lo, v14, v7, v14
	s_delay_alu instid0(VALU_DEP_3) | instskip(NEXT) | instid1(VALU_DEP_2)
	v_rcp_f32_e32 v20, v12
	v_rcp_f32_e32 v21, v19
	v_div_scale_f32 v22, s0, v16, v9, v16
	s_delay_alu instid0(TRANS32_DEP_2) | instskip(NEXT) | instid1(TRANS32_DEP_1)
	v_fma_f32 v10, -v12, v20, 1.0
	v_fma_f32 v11, -v19, v21, 1.0
	s_delay_alu instid0(VALU_DEP_1) | instskip(SKIP_3) | instid1(VALU_DEP_1)
	v_dual_fmac_f32 v20, v10, v20 :: v_dual_fmac_f32 v21, v11, v21
	ds_load_2addr_stride64_b32 v[10:11], v5 offset0:16 offset1:32
	v_subrev_nc_u32_e64 v5, 0x80, v0 clamp
	v_dual_mul_f32 v23, v13, v20 :: v_dual_mul_f32 v24, v22, v21
	v_dual_fma_f32 v25, -v12, v23, v13 :: v_dual_fma_f32 v26, -v19, v24, v22
	s_delay_alu instid0(VALU_DEP_1) | instskip(NEXT) | instid1(VALU_DEP_1)
	v_dual_fmac_f32 v23, v25, v20 :: v_dual_fmac_f32 v24, v26, v21
	v_fma_f32 v25, -v12, v23, v13
	ds_load_2addr_stride64_b32 v[12:13], v15 offset0:16 offset1:32
	v_fma_f32 v15, -v19, v24, v22
	s_wait_dscnt 0x0
	s_barrier_signal -1
	v_div_fmas_f32 v19, v25, v20, v23
	s_mov_b32 vcc_lo, s0
	v_add_min_i32_e64 v20, 0x80, v0, s1
	v_div_fmas_f32 v15, v15, v21, v24
	v_lshlrev_b32_e32 v5, 2, v5
	v_div_fixup_f32 v7, v19, v7, v14
	s_barrier_wait -1
	v_lshlrev_b32_e32 v14, 2, v20
	v_div_fixup_f32 v9, v15, v9, v16
	s_delay_alu instid0(VALU_DEP_3) | instskip(NEXT) | instid1(VALU_DEP_1)
	v_dual_fma_f32 v10, -v7, v10, v17 :: v_dual_fma_f32 v11, -v7, v11, v18
	v_dual_mul_f32 v6, v7, -v6 :: v_dual_fma_f32 v8, -v9, v8, v10
	s_delay_alu instid0(VALU_DEP_2)
	v_dual_fma_f32 v10, -v9, v13, v11 :: v_dual_mul_f32 v7, v9, -v12
	ds_store_b32 v4, v8
	ds_store_b32 v2, v10 offset:8192
	ds_store_b32 v2, v6
	ds_store_b32 v3, v7
	s_wait_dscnt 0x0
	s_barrier_signal -1
	s_barrier_wait -1
	ds_load_b32 v15, v2
	ds_load_2addr_stride64_b32 v[6:7], v5 offset1:8
	ds_load_2addr_stride64_b32 v[8:9], v14 offset1:8
	ds_load_b32 v16, v3
	ds_load_b32 v17, v4
	ds_load_b32 v18, v2 offset:8192
	s_wait_dscnt 0x4
	v_div_scale_f32 v12, null, v7, v7, v15
	s_wait_dscnt 0x2
	v_div_scale_f32 v19, null, v9, v9, v16
	v_div_scale_f32 v13, vcc_lo, v15, v7, v15
	s_delay_alu instid0(VALU_DEP_3) | instskip(NEXT) | instid1(VALU_DEP_2)
	v_rcp_f32_e32 v20, v12
	v_rcp_f32_e32 v21, v19
	v_div_scale_f32 v22, s0, v16, v9, v16
	s_delay_alu instid0(TRANS32_DEP_2) | instskip(NEXT) | instid1(TRANS32_DEP_1)
	v_fma_f32 v10, -v12, v20, 1.0
	v_fma_f32 v11, -v19, v21, 1.0
	s_delay_alu instid0(VALU_DEP_1) | instskip(SKIP_2) | instid1(VALU_DEP_1)
	v_dual_fmac_f32 v20, v10, v20 :: v_dual_fmac_f32 v21, v11, v21
	ds_load_2addr_stride64_b32 v[10:11], v5 offset0:16 offset1:32
	v_dual_mul_f32 v23, v13, v20 :: v_dual_mul_f32 v24, v22, v21
	v_dual_fma_f32 v25, -v12, v23, v13 :: v_dual_fma_f32 v26, -v19, v24, v22
	s_delay_alu instid0(VALU_DEP_1) | instskip(NEXT) | instid1(VALU_DEP_1)
	v_dual_fmac_f32 v23, v25, v20 :: v_dual_fmac_f32 v24, v26, v21
	v_fma_f32 v5, -v12, v23, v13
	ds_load_2addr_stride64_b32 v[12:13], v14 offset0:16 offset1:32
	v_fma_f32 v14, -v19, v24, v22
	s_wait_dscnt 0x0
	s_barrier_signal -1
	v_div_fmas_f32 v5, v5, v20, v23
	s_mov_b32 vcc_lo, s0
	s_mov_b32 s0, exec_lo
	v_div_fmas_f32 v14, v14, v21, v24
	s_barrier_wait -1
	v_div_fixup_f32 v5, v5, v7, v15
	s_delay_alu instid0(VALU_DEP_2) | instskip(NEXT) | instid1(VALU_DEP_2)
	v_div_fixup_f32 v7, v14, v9, v16
	v_dual_fma_f32 v9, -v5, v10, v17 :: v_dual_fma_f32 v10, -v5, v11, v18
	s_delay_alu instid0(VALU_DEP_1) | instskip(NEXT) | instid1(VALU_DEP_2)
	v_dual_mul_f32 v5, v5, -v6 :: v_dual_fma_f32 v8, -v7, v8, v9
	v_dual_fma_f32 v9, -v7, v13, v10 :: v_dual_mul_f32 v6, v7, -v12
	ds_store_b32 v4, v8
	ds_store_b32 v2, v9 offset:8192
	ds_store_b32 v2, v5
	ds_store_b32 v3, v6
	s_wait_dscnt 0x0
	s_barrier_signal -1
	s_barrier_wait -1
	v_cmpx_gt_u32_e32 0x100, v0
	s_cbranch_execz .LBB16_14
; %bb.9:
	v_or_b32_e32 v5, 0x100, v0
	v_or_b32_e32 v6, 0x2000, v2
	s_mov_b32 s1, exec_lo
                                        ; implicit-def: $vgpr7
	s_delay_alu instid0(VALU_DEP_2)
	v_cmpx_le_i32_e64 s3, v5
	s_xor_b32 s1, exec_lo, s1
	s_cbranch_execz .LBB16_11
; %bb.10:
	ds_load_b32 v3, v6
	ds_load_b32 v4, v4
	s_wait_dscnt 0x0
	v_div_scale_f32 v5, null, v4, v4, v3
	s_delay_alu instid0(VALU_DEP_1) | instskip(SKIP_1) | instid1(TRANS32_DEP_1)
	v_rcp_f32_e32 v6, v5
	v_nop
	v_fma_f32 v7, -v5, v6, 1.0
	s_delay_alu instid0(VALU_DEP_1) | instskip(SKIP_1) | instid1(VALU_DEP_1)
	v_fmac_f32_e32 v6, v7, v6
	v_div_scale_f32 v7, vcc_lo, v3, v4, v3
	v_mul_f32_e32 v8, v7, v6
	s_delay_alu instid0(VALU_DEP_1) | instskip(NEXT) | instid1(VALU_DEP_1)
	v_fma_f32 v9, -v5, v8, v7
	v_fmac_f32_e32 v8, v9, v6
	s_delay_alu instid0(VALU_DEP_1) | instskip(NEXT) | instid1(VALU_DEP_1)
	v_fma_f32 v5, -v5, v8, v7
	v_div_fmas_f32 v5, v5, v6, v8
                                        ; implicit-def: $vgpr6
	s_delay_alu instid0(VALU_DEP_1)
	v_div_fixup_f32 v7, v5, v4, v3
                                        ; implicit-def: $vgpr4
                                        ; implicit-def: $vgpr3
                                        ; implicit-def: $vgpr5
.LBB16_11:
	s_and_not1_saveexec_b32 s1, s1
	s_cbranch_execz .LBB16_13
; %bb.12:
	ds_load_2addr_stride64_b32 v[8:9], v4 offset1:4
	ds_load_b32 v0, v2 offset:1024
	ds_load_b32 v11, v3
	ds_load_2addr_stride64_b32 v[6:7], v6 offset1:4
	s_wait_dscnt 0x2
	v_dual_mov_b32 v10, v9 :: v_dual_mov_b32 v9, v0
	s_wait_dscnt 0x1
	s_delay_alu instid0(VALU_DEP_1) | instskip(NEXT) | instid1(VALU_DEP_1)
	v_pk_mul_f32 v[12:13], v[10:11], v[8:9]
	v_sub_f32_e32 v0, v12, v13
	s_delay_alu instid0(VALU_DEP_1) | instskip(NEXT) | instid1(VALU_DEP_1)
	v_div_scale_f32 v3, null, v0, v0, 1.0
	v_rcp_f32_e32 v4, v3
	v_nop
	s_delay_alu instid0(TRANS32_DEP_1) | instskip(NEXT) | instid1(VALU_DEP_1)
	v_fma_f32 v12, -v3, v4, 1.0
	v_fmac_f32_e32 v4, v12, v4
	v_div_scale_f32 v13, vcc_lo, 1.0, v0, 1.0
	s_delay_alu instid0(VALU_DEP_1) | instskip(NEXT) | instid1(VALU_DEP_1)
	v_mul_f32_e32 v14, v13, v4
	v_fma_f32 v12, -v3, v14, v13
	s_wait_dscnt 0x0
	s_delay_alu instid0(VALU_DEP_1) | instskip(NEXT) | instid1(VALU_DEP_1)
	v_dual_fmac_f32 v14, v12, v4 :: v_dual_mov_b32 v12, v7
	v_dual_fma_f32 v3, -v3, v14, v13 :: v_dual_mov_b32 v13, v6
	v_pk_mul_f32 v[6:7], v[10:11], v[6:7]
	s_delay_alu instid0(VALU_DEP_2) | instskip(NEXT) | instid1(VALU_DEP_3)
	v_div_fmas_f32 v3, v3, v4, v14
	v_pk_mul_f32 v[8:9], v[8:9], v[12:13]
	s_delay_alu instid0(VALU_DEP_3) | instskip(NEXT) | instid1(VALU_DEP_3)
	v_sub_f32_e32 v4, v6, v7
	v_div_fixup_f32 v0, v3, v0, 1.0
	s_delay_alu instid0(VALU_DEP_3) | instskip(NEXT) | instid1(VALU_DEP_1)
	v_sub_f32_e32 v3, v8, v9
	v_dual_mul_f32 v4, v0, v4 :: v_dual_mul_f32 v7, v0, v3
	v_mov_b32_e32 v0, v5
	ds_store_b32 v2, v4 offset:6144
.LBB16_13:
	s_or_b32 exec_lo, exec_lo, s1
	v_lshlrev_b32_e32 v0, 2, v0
	ds_store_b32 v0, v7 offset:6144
.LBB16_14:
	s_or_b32 exec_lo, exec_lo, s0
	s_wait_dscnt 0x0
	s_barrier_signal -1
	s_barrier_wait -1
	s_and_saveexec_b32 s0, s2
	s_cbranch_execz .LBB16_16
; %bb.15:
	ds_load_b32 v0, v2 offset:6144
	s_wait_dscnt 0x0
	s_wait_kmcnt 0x0
	global_store_b32 v1, v0, s[4:5] scale_offset
.LBB16_16:
	s_endpgm
	.section	.rodata,"a",@progbits
	.p2align	6, 0x0
	.amdhsa_kernel _ZN9rocsparseL44gtsv_nopivot_strided_batch_pcr_shared_kernelILj512EfEEviiiPKT0_S3_S3_PS1_
		.amdhsa_group_segment_fixed_size 10240
		.amdhsa_private_segment_fixed_size 0
		.amdhsa_kernarg_size 48
		.amdhsa_user_sgpr_count 2
		.amdhsa_user_sgpr_dispatch_ptr 0
		.amdhsa_user_sgpr_queue_ptr 0
		.amdhsa_user_sgpr_kernarg_segment_ptr 1
		.amdhsa_user_sgpr_dispatch_id 0
		.amdhsa_user_sgpr_kernarg_preload_length 0
		.amdhsa_user_sgpr_kernarg_preload_offset 0
		.amdhsa_user_sgpr_private_segment_size 0
		.amdhsa_wavefront_size32 1
		.amdhsa_uses_dynamic_stack 0
		.amdhsa_enable_private_segment 0
		.amdhsa_system_sgpr_workgroup_id_x 1
		.amdhsa_system_sgpr_workgroup_id_y 0
		.amdhsa_system_sgpr_workgroup_id_z 0
		.amdhsa_system_sgpr_workgroup_info 0
		.amdhsa_system_vgpr_workitem_id 0
		.amdhsa_next_free_vgpr 27
		.amdhsa_next_free_sgpr 8
		.amdhsa_named_barrier_count 0
		.amdhsa_reserve_vcc 1
		.amdhsa_float_round_mode_32 0
		.amdhsa_float_round_mode_16_64 0
		.amdhsa_float_denorm_mode_32 3
		.amdhsa_float_denorm_mode_16_64 3
		.amdhsa_fp16_overflow 0
		.amdhsa_memory_ordered 1
		.amdhsa_forward_progress 1
		.amdhsa_inst_pref_size 29
		.amdhsa_round_robin_scheduling 0
		.amdhsa_exception_fp_ieee_invalid_op 0
		.amdhsa_exception_fp_denorm_src 0
		.amdhsa_exception_fp_ieee_div_zero 0
		.amdhsa_exception_fp_ieee_overflow 0
		.amdhsa_exception_fp_ieee_underflow 0
		.amdhsa_exception_fp_ieee_inexact 0
		.amdhsa_exception_int_div_zero 0
	.end_amdhsa_kernel
	.section	.text._ZN9rocsparseL44gtsv_nopivot_strided_batch_pcr_shared_kernelILj512EfEEviiiPKT0_S3_S3_PS1_,"axG",@progbits,_ZN9rocsparseL44gtsv_nopivot_strided_batch_pcr_shared_kernelILj512EfEEviiiPKT0_S3_S3_PS1_,comdat
.Lfunc_end16:
	.size	_ZN9rocsparseL44gtsv_nopivot_strided_batch_pcr_shared_kernelILj512EfEEviiiPKT0_S3_S3_PS1_, .Lfunc_end16-_ZN9rocsparseL44gtsv_nopivot_strided_batch_pcr_shared_kernelILj512EfEEviiiPKT0_S3_S3_PS1_
                                        ; -- End function
	.set _ZN9rocsparseL44gtsv_nopivot_strided_batch_pcr_shared_kernelILj512EfEEviiiPKT0_S3_S3_PS1_.num_vgpr, 27
	.set _ZN9rocsparseL44gtsv_nopivot_strided_batch_pcr_shared_kernelILj512EfEEviiiPKT0_S3_S3_PS1_.num_agpr, 0
	.set _ZN9rocsparseL44gtsv_nopivot_strided_batch_pcr_shared_kernelILj512EfEEviiiPKT0_S3_S3_PS1_.numbered_sgpr, 8
	.set _ZN9rocsparseL44gtsv_nopivot_strided_batch_pcr_shared_kernelILj512EfEEviiiPKT0_S3_S3_PS1_.num_named_barrier, 0
	.set _ZN9rocsparseL44gtsv_nopivot_strided_batch_pcr_shared_kernelILj512EfEEviiiPKT0_S3_S3_PS1_.private_seg_size, 0
	.set _ZN9rocsparseL44gtsv_nopivot_strided_batch_pcr_shared_kernelILj512EfEEviiiPKT0_S3_S3_PS1_.uses_vcc, 1
	.set _ZN9rocsparseL44gtsv_nopivot_strided_batch_pcr_shared_kernelILj512EfEEviiiPKT0_S3_S3_PS1_.uses_flat_scratch, 0
	.set _ZN9rocsparseL44gtsv_nopivot_strided_batch_pcr_shared_kernelILj512EfEEviiiPKT0_S3_S3_PS1_.has_dyn_sized_stack, 0
	.set _ZN9rocsparseL44gtsv_nopivot_strided_batch_pcr_shared_kernelILj512EfEEviiiPKT0_S3_S3_PS1_.has_recursion, 0
	.set _ZN9rocsparseL44gtsv_nopivot_strided_batch_pcr_shared_kernelILj512EfEEviiiPKT0_S3_S3_PS1_.has_indirect_call, 0
	.section	.AMDGPU.csdata,"",@progbits
; Kernel info:
; codeLenInByte = 3676
; TotalNumSgprs: 10
; NumVgprs: 27
; ScratchSize: 0
; MemoryBound: 0
; FloatMode: 240
; IeeeMode: 1
; LDSByteSize: 10240 bytes/workgroup (compile time only)
; SGPRBlocks: 0
; VGPRBlocks: 1
; NumSGPRsForWavesPerEU: 10
; NumVGPRsForWavesPerEU: 27
; NamedBarCnt: 0
; Occupancy: 16
; WaveLimiterHint : 0
; COMPUTE_PGM_RSRC2:SCRATCH_EN: 0
; COMPUTE_PGM_RSRC2:USER_SGPR: 2
; COMPUTE_PGM_RSRC2:TRAP_HANDLER: 0
; COMPUTE_PGM_RSRC2:TGID_X_EN: 1
; COMPUTE_PGM_RSRC2:TGID_Y_EN: 0
; COMPUTE_PGM_RSRC2:TGID_Z_EN: 0
; COMPUTE_PGM_RSRC2:TIDIG_COMP_CNT: 0
	.section	.text._ZN9rocsparseL49gtsv_nopivot_strided_batch_pcr_pow2_stage1_kernelILj256EfEEviiiiPKT0_S3_S3_S3_PS1_S4_S4_S4_,"axG",@progbits,_ZN9rocsparseL49gtsv_nopivot_strided_batch_pcr_pow2_stage1_kernelILj256EfEEviiiiPKT0_S3_S3_S3_PS1_S4_S4_S4_,comdat
	.globl	_ZN9rocsparseL49gtsv_nopivot_strided_batch_pcr_pow2_stage1_kernelILj256EfEEviiiiPKT0_S3_S3_S3_PS1_S4_S4_S4_ ; -- Begin function _ZN9rocsparseL49gtsv_nopivot_strided_batch_pcr_pow2_stage1_kernelILj256EfEEviiiiPKT0_S3_S3_S3_PS1_S4_S4_S4_
	.p2align	8
	.type	_ZN9rocsparseL49gtsv_nopivot_strided_batch_pcr_pow2_stage1_kernelILj256EfEEviiiiPKT0_S3_S3_S3_PS1_S4_S4_S4_,@function
_ZN9rocsparseL49gtsv_nopivot_strided_batch_pcr_pow2_stage1_kernelILj256EfEEviiiiPKT0_S3_S3_S3_PS1_S4_S4_S4_: ; @_ZN9rocsparseL49gtsv_nopivot_strided_batch_pcr_pow2_stage1_kernelILj256EfEEviiiiPKT0_S3_S3_S3_PS1_S4_S4_S4_
; %bb.0:
	s_clause 0x1
	s_load_b64 s[2:3], s[0:1], 0x0
	s_load_b32 s12, s[0:1], 0xc
	s_bfe_u32 s14, ttmp6, 0x4000c
	s_bfe_u32 s15, ttmp6, 0x40010
	s_load_b256 s[4:11], s[0:1], 0x10
	s_add_co_i32 s14, s14, 1
	s_add_co_i32 s15, s15, 1
	s_and_b32 s13, ttmp6, 15
	s_bfe_u32 s16, ttmp6, 0x40004
	s_mul_i32 s14, ttmp9, s14
	s_mul_i32 s15, ttmp7, s15
	s_getreg_b32 s17, hwreg(HW_REG_IB_STS2, 6, 4)
	s_add_co_i32 s13, s13, s14
	s_add_co_i32 s16, s16, s15
	s_wait_kmcnt 0x0
	s_add_co_i32 s14, s3, -1
	s_cmp_eq_u32 s17, 0
	s_cselect_b32 s13, ttmp9, s13
	s_cselect_b32 s15, ttmp7, s16
	v_lshl_or_b32 v6, s13, 8, v0
	s_mul_i32 s12, s12, s15
	s_delay_alu instid0(SALU_CYCLE_1) | instskip(NEXT) | instid1(SALU_CYCLE_1)
	s_ashr_i32 s13, s12, 31
	s_lshl_b64 s[12:13], s[12:13], 2
	s_delay_alu instid0(VALU_DEP_1)
	v_subrev_nc_u32_e32 v0, s2, v6
	v_add_min_i32_e64 v4, v6, s2, s14
	s_add_nc_u64 s[6:7], s[6:7], s[12:13]
	s_add_nc_u64 s[8:9], s[8:9], s[12:13]
	s_add_nc_u64 s[4:5], s[4:5], s[12:13]
	v_max_i32_e32 v5, 0, v0
	global_load_b32 v7, v4, s[6:7] scale_offset
	s_clause 0x1
	global_load_b32 v8, v6, s[8:9] scale_offset
	global_load_b32 v9, v6, s[4:5] scale_offset
	;; [unrolled: 1-line block ×3, first 2 shown]
	s_add_nc_u64 s[10:11], s[10:11], s[12:13]
	s_clause 0x1
	global_load_b32 v1, v4, s[10:11] scale_offset
	global_load_b32 v3, v4, s[4:5] scale_offset
	s_clause 0x2
	global_load_b32 v0, v5, s[10:11] scale_offset
	global_load_b32 v11, v5, s[4:5] scale_offset
	;; [unrolled: 1-line block ×3, first 2 shown]
	s_clause 0x1
	global_load_b32 v12, v6, s[6:7] scale_offset
	global_load_b32 v13, v6, s[10:11] scale_offset
	;; [unrolled: 1-line block ×3, first 2 shown]
	s_wait_xcnt 0x0
	s_load_b256 s[4:11], s[0:1], 0x30
	s_wait_xcnt 0x0
	s_mul_i32 s0, s3, s15
	s_delay_alu instid0(SALU_CYCLE_1) | instskip(NEXT) | instid1(SALU_CYCLE_1)
	s_ashr_i32 s1, s0, 31
	s_lshl_b64 s[0:1], s[0:1], 2
	s_wait_kmcnt 0x0
	s_add_nc_u64 s[6:7], s[6:7], s[0:1]
	s_add_nc_u64 s[8:9], s[8:9], s[0:1]
	s_wait_loadcnt 0xa
	v_div_scale_f32 v4, null, v7, v7, v8
	s_wait_loadcnt 0x8
	v_div_scale_f32 v5, null, v10, v10, v9
	v_div_scale_f32 v19, vcc_lo, v8, v7, v8
	s_delay_alu instid0(VALU_DEP_3) | instskip(NEXT) | instid1(VALU_DEP_2)
	v_rcp_f32_e32 v15, v4
	v_rcp_f32_e32 v16, v5
	s_delay_alu instid0(TRANS32_DEP_2) | instskip(NEXT) | instid1(TRANS32_DEP_1)
	v_fma_f32 v17, -v4, v15, 1.0
	v_fma_f32 v18, -v5, v16, 1.0
	s_delay_alu instid0(VALU_DEP_2) | instskip(SKIP_1) | instid1(VALU_DEP_2)
	v_fmac_f32_e32 v15, v17, v15
	v_div_scale_f32 v17, s2, v9, v10, v9
	v_dual_fmac_f32 v16, v18, v16 :: v_dual_mul_f32 v18, v19, v15
	s_delay_alu instid0(VALU_DEP_1) | instskip(NEXT) | instid1(VALU_DEP_1)
	v_dual_mul_f32 v20, v17, v16 :: v_dual_fma_f32 v21, -v4, v18, v19
	v_fmac_f32_e32 v18, v21, v15
	s_delay_alu instid0(VALU_DEP_1) | instskip(NEXT) | instid1(VALU_DEP_1)
	v_dual_fma_f32 v22, -v5, v20, v17 :: v_dual_fma_f32 v4, -v4, v18, v19
	v_fmac_f32_e32 v20, v22, v16
	s_delay_alu instid0(VALU_DEP_2) | instskip(NEXT) | instid1(VALU_DEP_2)
	v_div_fmas_f32 v4, v4, v15, v18
	v_fma_f32 v5, -v5, v20, v17
	s_mov_b32 vcc_lo, s2
	s_add_nc_u64 s[2:3], s[10:11], s[0:1]
	s_add_nc_u64 s[0:1], s[4:5], s[0:1]
	s_delay_alu instid0(VALU_DEP_1) | instskip(SKIP_1) | instid1(VALU_DEP_2)
	v_div_fmas_f32 v15, v5, v16, v20
	v_div_fixup_f32 v5, v4, v7, v8
	v_div_fixup_f32 v4, v15, v10, v9
	s_wait_loadcnt 0x5
	s_delay_alu instid0(VALU_DEP_1) | instskip(SKIP_3) | instid1(VALU_DEP_1)
	v_pk_mul_f32 v[0:1], v[4:5], v[0:1]
	s_wait_loadcnt 0x3
	v_pk_mul_f32 v[2:3], v[4:5], v[2:3]
	s_wait_loadcnt 0x1
	v_dual_sub_f32 v2, v12, v2 :: v_dual_sub_f32 v0, v13, v0
	s_delay_alu instid0(VALU_DEP_1)
	v_dual_sub_f32 v0, v0, v1 :: v_dual_sub_f32 v1, v2, v3
	s_wait_loadcnt 0x0
	v_dual_mul_f32 v2, v4, -v11 :: v_dual_mul_f32 v3, v5, -v14
	s_clause 0x3
	global_store_b32 v6, v0, s[2:3] scale_offset
	global_store_b32 v6, v1, s[6:7] scale_offset
	;; [unrolled: 1-line block ×4, first 2 shown]
	s_endpgm
	.section	.rodata,"a",@progbits
	.p2align	6, 0x0
	.amdhsa_kernel _ZN9rocsparseL49gtsv_nopivot_strided_batch_pcr_pow2_stage1_kernelILj256EfEEviiiiPKT0_S3_S3_S3_PS1_S4_S4_S4_
		.amdhsa_group_segment_fixed_size 0
		.amdhsa_private_segment_fixed_size 0
		.amdhsa_kernarg_size 80
		.amdhsa_user_sgpr_count 2
		.amdhsa_user_sgpr_dispatch_ptr 0
		.amdhsa_user_sgpr_queue_ptr 0
		.amdhsa_user_sgpr_kernarg_segment_ptr 1
		.amdhsa_user_sgpr_dispatch_id 0
		.amdhsa_user_sgpr_kernarg_preload_length 0
		.amdhsa_user_sgpr_kernarg_preload_offset 0
		.amdhsa_user_sgpr_private_segment_size 0
		.amdhsa_wavefront_size32 1
		.amdhsa_uses_dynamic_stack 0
		.amdhsa_enable_private_segment 0
		.amdhsa_system_sgpr_workgroup_id_x 1
		.amdhsa_system_sgpr_workgroup_id_y 1
		.amdhsa_system_sgpr_workgroup_id_z 0
		.amdhsa_system_sgpr_workgroup_info 0
		.amdhsa_system_vgpr_workitem_id 0
		.amdhsa_next_free_vgpr 23
		.amdhsa_next_free_sgpr 18
		.amdhsa_named_barrier_count 0
		.amdhsa_reserve_vcc 1
		.amdhsa_float_round_mode_32 0
		.amdhsa_float_round_mode_16_64 0
		.amdhsa_float_denorm_mode_32 3
		.amdhsa_float_denorm_mode_16_64 3
		.amdhsa_fp16_overflow 0
		.amdhsa_memory_ordered 1
		.amdhsa_forward_progress 1
		.amdhsa_inst_pref_size 6
		.amdhsa_round_robin_scheduling 0
		.amdhsa_exception_fp_ieee_invalid_op 0
		.amdhsa_exception_fp_denorm_src 0
		.amdhsa_exception_fp_ieee_div_zero 0
		.amdhsa_exception_fp_ieee_overflow 0
		.amdhsa_exception_fp_ieee_underflow 0
		.amdhsa_exception_fp_ieee_inexact 0
		.amdhsa_exception_int_div_zero 0
	.end_amdhsa_kernel
	.section	.text._ZN9rocsparseL49gtsv_nopivot_strided_batch_pcr_pow2_stage1_kernelILj256EfEEviiiiPKT0_S3_S3_S3_PS1_S4_S4_S4_,"axG",@progbits,_ZN9rocsparseL49gtsv_nopivot_strided_batch_pcr_pow2_stage1_kernelILj256EfEEviiiiPKT0_S3_S3_S3_PS1_S4_S4_S4_,comdat
.Lfunc_end17:
	.size	_ZN9rocsparseL49gtsv_nopivot_strided_batch_pcr_pow2_stage1_kernelILj256EfEEviiiiPKT0_S3_S3_S3_PS1_S4_S4_S4_, .Lfunc_end17-_ZN9rocsparseL49gtsv_nopivot_strided_batch_pcr_pow2_stage1_kernelILj256EfEEviiiiPKT0_S3_S3_S3_PS1_S4_S4_S4_
                                        ; -- End function
	.set _ZN9rocsparseL49gtsv_nopivot_strided_batch_pcr_pow2_stage1_kernelILj256EfEEviiiiPKT0_S3_S3_S3_PS1_S4_S4_S4_.num_vgpr, 23
	.set _ZN9rocsparseL49gtsv_nopivot_strided_batch_pcr_pow2_stage1_kernelILj256EfEEviiiiPKT0_S3_S3_S3_PS1_S4_S4_S4_.num_agpr, 0
	.set _ZN9rocsparseL49gtsv_nopivot_strided_batch_pcr_pow2_stage1_kernelILj256EfEEviiiiPKT0_S3_S3_S3_PS1_S4_S4_S4_.numbered_sgpr, 18
	.set _ZN9rocsparseL49gtsv_nopivot_strided_batch_pcr_pow2_stage1_kernelILj256EfEEviiiiPKT0_S3_S3_S3_PS1_S4_S4_S4_.num_named_barrier, 0
	.set _ZN9rocsparseL49gtsv_nopivot_strided_batch_pcr_pow2_stage1_kernelILj256EfEEviiiiPKT0_S3_S3_S3_PS1_S4_S4_S4_.private_seg_size, 0
	.set _ZN9rocsparseL49gtsv_nopivot_strided_batch_pcr_pow2_stage1_kernelILj256EfEEviiiiPKT0_S3_S3_S3_PS1_S4_S4_S4_.uses_vcc, 1
	.set _ZN9rocsparseL49gtsv_nopivot_strided_batch_pcr_pow2_stage1_kernelILj256EfEEviiiiPKT0_S3_S3_S3_PS1_S4_S4_S4_.uses_flat_scratch, 0
	.set _ZN9rocsparseL49gtsv_nopivot_strided_batch_pcr_pow2_stage1_kernelILj256EfEEviiiiPKT0_S3_S3_S3_PS1_S4_S4_S4_.has_dyn_sized_stack, 0
	.set _ZN9rocsparseL49gtsv_nopivot_strided_batch_pcr_pow2_stage1_kernelILj256EfEEviiiiPKT0_S3_S3_S3_PS1_S4_S4_S4_.has_recursion, 0
	.set _ZN9rocsparseL49gtsv_nopivot_strided_batch_pcr_pow2_stage1_kernelILj256EfEEviiiiPKT0_S3_S3_S3_PS1_S4_S4_S4_.has_indirect_call, 0
	.section	.AMDGPU.csdata,"",@progbits
; Kernel info:
; codeLenInByte = 688
; TotalNumSgprs: 20
; NumVgprs: 23
; ScratchSize: 0
; MemoryBound: 0
; FloatMode: 240
; IeeeMode: 1
; LDSByteSize: 0 bytes/workgroup (compile time only)
; SGPRBlocks: 0
; VGPRBlocks: 1
; NumSGPRsForWavesPerEU: 20
; NumVGPRsForWavesPerEU: 23
; NamedBarCnt: 0
; Occupancy: 16
; WaveLimiterHint : 0
; COMPUTE_PGM_RSRC2:SCRATCH_EN: 0
; COMPUTE_PGM_RSRC2:USER_SGPR: 2
; COMPUTE_PGM_RSRC2:TRAP_HANDLER: 0
; COMPUTE_PGM_RSRC2:TGID_X_EN: 1
; COMPUTE_PGM_RSRC2:TGID_Y_EN: 1
; COMPUTE_PGM_RSRC2:TGID_Z_EN: 0
; COMPUTE_PGM_RSRC2:TIDIG_COMP_CNT: 0
	.section	.text._ZN9rocsparseL48gtsv_nopivot_strided_batch_cr_pow2_stage2_kernelILj256EfEEviiiPKT0_S3_S3_S3_PS1_,"axG",@progbits,_ZN9rocsparseL48gtsv_nopivot_strided_batch_cr_pow2_stage2_kernelILj256EfEEviiiPKT0_S3_S3_S3_PS1_,comdat
	.globl	_ZN9rocsparseL48gtsv_nopivot_strided_batch_cr_pow2_stage2_kernelILj256EfEEviiiPKT0_S3_S3_S3_PS1_ ; -- Begin function _ZN9rocsparseL48gtsv_nopivot_strided_batch_cr_pow2_stage2_kernelILj256EfEEviiiPKT0_S3_S3_S3_PS1_
	.p2align	8
	.type	_ZN9rocsparseL48gtsv_nopivot_strided_batch_cr_pow2_stage2_kernelILj256EfEEviiiPKT0_S3_S3_S3_PS1_,@function
_ZN9rocsparseL48gtsv_nopivot_strided_batch_cr_pow2_stage2_kernelILj256EfEEviiiPKT0_S3_S3_S3_PS1_: ; @_ZN9rocsparseL48gtsv_nopivot_strided_batch_cr_pow2_stage2_kernelILj256EfEEviiiPKT0_S3_S3_S3_PS1_
; %bb.0:
	s_load_b32 s2, s[0:1], 0x38
	s_bfe_u32 s4, ttmp6, 0x4000c
	s_bfe_u32 s5, ttmp6, 0x40010
	s_load_b32 s8, s[0:1], 0x0
	s_add_co_i32 s4, s4, 1
	s_add_co_i32 s5, s5, 1
	s_and_b32 s3, ttmp6, 15
	s_bfe_u32 s6, ttmp6, 0x40004
	s_mul_i32 s4, ttmp9, s4
	s_mul_i32 s5, ttmp7, s5
	s_getreg_b32 s7, hwreg(HW_REG_IB_STS2, 6, 4)
	s_add_co_i32 s3, s3, s4
	s_add_co_i32 s6, s6, s5
	s_cmp_eq_u32 s7, 0
	s_load_b256 s[12:19], s[0:1], 0x10
	s_cselect_b32 s3, ttmp9, s3
	s_cselect_b32 s11, ttmp7, s6
	v_mov_b32_e32 v13, 0
	s_wait_kmcnt 0x0
	v_mad_u32 v1, s2, v0, s3
	s_mul_i32 s8, s8, s11
	s_delay_alu instid0(VALU_DEP_1) | instskip(SKIP_2) | instid1(VALU_DEP_3)
	v_lshl_add_u32 v2, s2, 8, v1
	v_add_nc_u32_e32 v3, s8, v1
	v_cmp_gt_u32_e64 s2, 0x100, v0
	v_add_nc_u32_e32 v4, s8, v2
	s_clause 0x3
	global_load_b32 v5, v3, s[12:13] scale_offset
	global_load_b32 v6, v3, s[14:15] scale_offset
	;; [unrolled: 1-line block ×4, first 2 shown]
	s_clause 0x3
	global_load_b32 v9, v4, s[12:13] scale_offset
	global_load_b32 v10, v4, s[14:15] scale_offset
	;; [unrolled: 1-line block ×4, first 2 shown]
	s_wait_xcnt 0x0
	v_dual_lshlrev_b32 v3, 2, v0 :: v_dual_add_nc_u32 v4, 1, v0
	ds_store_2addr_stride64_b32 v3, v13, v13 offset0:24 offset1:28
	s_wait_loadcnt 0x3
	ds_store_2addr_stride64_b32 v3, v5, v9 offset1:4
	s_wait_loadcnt 0x2
	ds_store_2addr_stride64_b32 v3, v6, v10 offset0:8 offset1:12
	s_wait_loadcnt 0x1
	ds_store_2addr_stride64_b32 v3, v7, v11 offset0:16 offset1:20
	;; [unrolled: 2-line block ×3, first 2 shown]
	s_wait_dscnt 0x0
	s_barrier_signal -1
	s_barrier_wait -1
	s_and_saveexec_b32 s4, s2
	s_cbranch_execz .LBB18_2
; %bb.1:
	v_dual_lshlrev_b32 v5, 1, v4 :: v_dual_lshlrev_b32 v22, 3, v4
	s_delay_alu instid0(VALU_DEP_1) | instskip(NEXT) | instid1(VALU_DEP_2)
	v_min_u32_e32 v5, 0x1ff, v5
	v_add_nc_u32_e32 v6, 0x1f8, v22
	s_delay_alu instid0(VALU_DEP_2)
	v_dual_add_nc_u32 v12, -8, v22 :: v_dual_lshlrev_b32 v5, 2, v5
	ds_load_2addr_stride64_b64 v[6:9], v6 offset0:3 offset1:7
	ds_load_2addr_stride64_b32 v[10:11], v5 offset1:8
	ds_load_b64 v[12:13], v12
	ds_load_b64 v[14:15], v22 offset:8184
	s_wait_dscnt 0x2
	v_div_scale_f32 v18, null, v11, v11, v9
	s_wait_dscnt 0x1
	v_div_scale_f32 v19, null, v6, v6, v13
	v_div_scale_f32 v23, vcc_lo, v9, v11, v9
	s_delay_alu instid0(VALU_DEP_3) | instskip(NEXT) | instid1(VALU_DEP_2)
	v_rcp_f32_e32 v20, v18
	v_rcp_f32_e32 v21, v19
	v_div_scale_f32 v24, s3, v13, v6, v13
	s_delay_alu instid0(TRANS32_DEP_2) | instskip(NEXT) | instid1(TRANS32_DEP_1)
	v_fma_f32 v16, -v18, v20, 1.0
	v_fma_f32 v17, -v19, v21, 1.0
	s_delay_alu instid0(VALU_DEP_1) | instskip(SKIP_2) | instid1(VALU_DEP_1)
	v_dual_fmac_f32 v20, v16, v20 :: v_dual_fmac_f32 v21, v17, v21
	ds_load_2addr_stride64_b32 v[16:17], v5 offset0:16 offset1:32
	v_dual_mul_f32 v25, v23, v20 :: v_dual_mul_f32 v26, v24, v21
	v_dual_fma_f32 v27, -v18, v25, v23 :: v_dual_fma_f32 v5, -v19, v26, v24
	s_delay_alu instid0(VALU_DEP_1) | instskip(NEXT) | instid1(VALU_DEP_1)
	v_dual_fmac_f32 v25, v27, v20 :: v_dual_fmac_f32 v26, v5, v21
	v_dual_fma_f32 v5, -v18, v25, v23 :: v_dual_fma_f32 v18, -v19, v26, v24
	s_wait_dscnt 0x0
	v_mov_b32_e32 v19, v17
	s_delay_alu instid0(VALU_DEP_2) | instskip(SKIP_3) | instid1(VALU_DEP_3)
	v_div_fmas_f32 v5, v5, v20, v25
	s_mov_b32 vcc_lo, s3
	v_div_fmas_f32 v20, v18, v21, v26
	v_mov_b32_e32 v18, v14
	v_div_fixup_f32 v21, v5, v11, v9
	v_mov_b32_e32 v9, v10
	s_delay_alu instid0(VALU_DEP_4) | instskip(NEXT) | instid1(VALU_DEP_1)
	v_div_fixup_f32 v20, v20, v6, v13
	v_pk_mul_f32 v[10:11], v[20:21], v[18:19]
	s_delay_alu instid0(VALU_DEP_3) | instskip(SKIP_1) | instid1(VALU_DEP_3)
	v_pk_mul_f32 v[8:9], v[20:21], v[8:9]
	v_add_nc_u32_e32 v6, -4, v22
	v_dual_sub_f32 v5, v15, v10 :: v_dual_mul_f32 v10, v21, -v16
	s_delay_alu instid0(VALU_DEP_3) | instskip(NEXT) | instid1(VALU_DEP_2)
	v_dual_sub_f32 v7, v7, v8 :: v_dual_add_nc_u32 v8, 0xfc, v22
	v_dual_sub_f32 v5, v5, v11 :: v_dual_mul_f32 v11, v20, -v12
	s_delay_alu instid0(VALU_DEP_2)
	v_sub_f32_e32 v7, v7, v9
	ds_store_b32 v22, v5 offset:8188
	ds_store_b32 v6, v11
	ds_store_2addr_stride64_b32 v8, v7, v10 offset0:7 offset1:15
.LBB18_2:
	s_or_b32 exec_lo, exec_lo, s4
	v_cmp_gt_u32_e64 s3, 0x80, v0
	s_wait_dscnt 0x0
	s_barrier_signal -1
	s_barrier_wait -1
	s_and_saveexec_b32 s5, s3
	s_cbranch_execz .LBB18_4
; %bb.3:
	v_lshl_or_b32 v5, v4, 2, 1
	s_delay_alu instid0(VALU_DEP_1) | instskip(NEXT) | instid1(VALU_DEP_1)
	v_min_u32_e32 v5, 0x1ff, v5
	v_dual_lshlrev_b32 v20, 4, v4 :: v_dual_lshlrev_b32 v5, 2, v5
	s_delay_alu instid0(VALU_DEP_1)
	v_dual_add_nc_u32 v21, -4, v20 :: v_dual_add_nc_u32 v12, -12, v20
	v_add_nc_u32_e32 v6, 0x400, v20
	v_add_nc_u32_e32 v8, 0xc00, v20
	ds_load_b32 v18, v21
	ds_load_2addr_b32 v[6:7], v6 offset0:253 offset1:255
	ds_load_2addr_b32 v[8:9], v8 offset0:253 offset1:255
	ds_load_2addr_stride64_b32 v[10:11], v5 offset1:8
	ds_load_b32 v22, v12
	ds_load_2addr_stride64_b32 v[14:15], v5 offset0:16 offset1:32
	s_wait_dscnt 0x4
	v_div_scale_f32 v16, null, v6, v6, v18
	s_wait_dscnt 0x2
	v_div_scale_f32 v17, null, v11, v11, v9
	v_div_scale_f32 v24, vcc_lo, v18, v6, v18
	s_delay_alu instid0(VALU_DEP_3) | instskip(NEXT) | instid1(VALU_DEP_2)
	v_rcp_f32_e32 v19, v16
	v_rcp_f32_e32 v23, v17
	v_div_scale_f32 v25, s4, v9, v11, v9
	s_delay_alu instid0(TRANS32_DEP_2) | instskip(NEXT) | instid1(TRANS32_DEP_1)
	v_fma_f32 v12, -v16, v19, 1.0
	v_fma_f32 v13, -v17, v23, 1.0
	s_delay_alu instid0(VALU_DEP_2) | instskip(NEXT) | instid1(VALU_DEP_2)
	v_fmac_f32_e32 v19, v12, v19
	v_dual_fmac_f32 v23, v13, v23 :: v_dual_add_nc_u32 v12, 0x1c00, v20
	s_delay_alu instid0(VALU_DEP_2) | instskip(NEXT) | instid1(VALU_DEP_2)
	v_mul_f32_e32 v26, v24, v19
	v_mul_f32_e32 v27, v25, v23
	ds_load_2addr_b32 v[12:13], v12 offset0:253 offset1:255
	v_dual_fma_f32 v28, -v16, v26, v24 :: v_dual_fma_f32 v5, -v17, v27, v25
	s_delay_alu instid0(VALU_DEP_1) | instskip(NEXT) | instid1(VALU_DEP_1)
	v_fmac_f32_e32 v26, v28, v19
	v_dual_fmac_f32 v27, v5, v23 :: v_dual_fma_f32 v5, -v16, v26, v24
	s_wait_dscnt 0x1
	s_delay_alu instid0(VALU_DEP_1) | instskip(NEXT) | instid1(VALU_DEP_2)
	v_dual_fma_f32 v16, -v17, v27, v25 :: v_dual_mov_b32 v17, v15
	v_div_fmas_f32 v5, v5, v19, v26
	s_mov_b32 vcc_lo, s4
	s_delay_alu instid0(VALU_DEP_2) | instskip(SKIP_3) | instid1(VALU_DEP_3)
	v_div_fmas_f32 v19, v16, v23, v27
	s_wait_dscnt 0x0
	v_mov_b32_e32 v16, v12
	v_div_fixup_f32 v18, v5, v6, v18
	v_div_fixup_f32 v19, v19, v11, v9
	v_mov_b32_e32 v9, v10
	s_delay_alu instid0(VALU_DEP_2) | instskip(NEXT) | instid1(VALU_DEP_2)
	v_pk_mul_f32 v[10:11], v[18:19], v[16:17]
	v_pk_mul_f32 v[8:9], v[18:19], v[8:9]
	s_delay_alu instid0(VALU_DEP_1) | instskip(SKIP_2) | instid1(VALU_DEP_3)
	v_dual_sub_f32 v5, v13, v10 :: v_dual_sub_f32 v6, v7, v8
	v_mul_f32_e64 v8, v18, -v22
	v_add_nc_u32_e32 v7, 0xfc, v20
	v_dual_mul_f32 v10, v19, -v14 :: v_dual_sub_f32 v5, v5, v11
	s_delay_alu instid0(VALU_DEP_4)
	v_sub_f32_e32 v6, v6, v9
	ds_store_b32 v20, v5 offset:8188
	ds_store_b32 v21, v8
	ds_store_2addr_stride64_b32 v7, v6, v10 offset0:7 offset1:15
.LBB18_4:
	s_or_b32 exec_lo, exec_lo, s5
	v_cmp_gt_u32_e64 s4, 64, v0
	s_wait_dscnt 0x0
	s_barrier_signal -1
	s_barrier_wait -1
	s_and_saveexec_b32 s6, s4
	s_cbranch_execz .LBB18_6
; %bb.5:
	v_lshl_or_b32 v5, v4, 3, 3
	s_delay_alu instid0(VALU_DEP_1) | instskip(NEXT) | instid1(VALU_DEP_1)
	v_min_u32_e32 v5, 0x1ff, v5
	v_dual_lshlrev_b32 v20, 5, v4 :: v_dual_lshlrev_b32 v5, 2, v5
	s_delay_alu instid0(VALU_DEP_1)
	v_add_nc_u32_e32 v21, -4, v20
	v_add_nc_u32_e32 v6, 0x400, v20
	v_add_nc_u32_e32 v8, 0xc00, v20
	v_subrev_nc_u32_e32 v12, 20, v20
	ds_load_b32 v18, v21
	ds_load_2addr_b32 v[6:7], v6 offset0:251 offset1:255
	ds_load_2addr_b32 v[8:9], v8 offset0:251 offset1:255
	ds_load_2addr_stride64_b32 v[10:11], v5 offset1:8
	ds_load_2addr_stride64_b32 v[14:15], v5 offset0:16 offset1:32
	ds_load_b32 v22, v12
	s_wait_dscnt 0x4
	v_div_scale_f32 v16, null, v6, v6, v18
	s_wait_dscnt 0x2
	v_div_scale_f32 v17, null, v11, v11, v9
	v_div_scale_f32 v24, vcc_lo, v18, v6, v18
	s_delay_alu instid0(VALU_DEP_3) | instskip(NEXT) | instid1(VALU_DEP_2)
	v_rcp_f32_e32 v19, v16
	v_rcp_f32_e32 v23, v17
	v_div_scale_f32 v25, s5, v9, v11, v9
	s_delay_alu instid0(TRANS32_DEP_2) | instskip(NEXT) | instid1(TRANS32_DEP_1)
	v_fma_f32 v12, -v16, v19, 1.0
	v_fma_f32 v13, -v17, v23, 1.0
	s_delay_alu instid0(VALU_DEP_2) | instskip(NEXT) | instid1(VALU_DEP_2)
	v_fmac_f32_e32 v19, v12, v19
	v_fmac_f32_e32 v23, v13, v23
	s_delay_alu instid0(VALU_DEP_2) | instskip(NEXT) | instid1(VALU_DEP_1)
	v_mul_f32_e32 v26, v24, v19
	v_dual_mul_f32 v27, v25, v23 :: v_dual_fma_f32 v28, -v16, v26, v24
	s_delay_alu instid0(VALU_DEP_1) | instskip(SKIP_1) | instid1(VALU_DEP_3)
	v_fma_f32 v5, -v17, v27, v25
	v_add_nc_u32_e32 v12, 0x1c00, v20
	v_fmac_f32_e32 v26, v28, v19
	s_delay_alu instid0(VALU_DEP_3) | instskip(SKIP_4) | instid1(VALU_DEP_2)
	v_fmac_f32_e32 v27, v5, v23
	ds_load_2addr_b32 v[12:13], v12 offset0:251 offset1:255
	v_dual_fma_f32 v5, -v16, v26, v24 :: v_dual_fma_f32 v16, -v17, v27, v25
	s_wait_dscnt 0x2
	v_mov_b32_e32 v17, v15
	v_div_fmas_f32 v5, v5, v19, v26
	s_mov_b32 vcc_lo, s5
	v_div_fmas_f32 v19, v16, v23, v27
	s_delay_alu instid0(VALU_DEP_2) | instskip(NEXT) | instid1(VALU_DEP_2)
	v_div_fixup_f32 v18, v5, v6, v18
	v_div_fixup_f32 v19, v19, v11, v9
	s_wait_dscnt 0x0
	v_dual_mov_b32 v9, v10 :: v_dual_mov_b32 v16, v12
	s_delay_alu instid0(VALU_DEP_1) | instskip(NEXT) | instid1(VALU_DEP_2)
	v_pk_mul_f32 v[8:9], v[18:19], v[8:9]
	v_pk_mul_f32 v[10:11], v[18:19], v[16:17]
	s_delay_alu instid0(VALU_DEP_2) | instskip(SKIP_1) | instid1(VALU_DEP_3)
	v_dual_sub_f32 v6, v7, v8 :: v_dual_mul_f32 v8, v18, -v22
	v_add_nc_u32_e32 v7, 0xfc, v20
	v_sub_f32_e32 v5, v13, v10
	s_delay_alu instid0(VALU_DEP_3) | instskip(NEXT) | instid1(VALU_DEP_2)
	v_dual_mul_f32 v10, v19, -v14 :: v_dual_sub_f32 v6, v6, v9
	v_sub_f32_e32 v5, v5, v11
	ds_store_b32 v20, v5 offset:8188
	ds_store_b32 v21, v8
	ds_store_2addr_stride64_b32 v7, v6, v10 offset0:7 offset1:15
.LBB18_6:
	s_or_b32 exec_lo, exec_lo, s6
	v_cmp_gt_u32_e64 s5, 32, v0
	s_wait_dscnt 0x0
	s_barrier_signal -1
	s_barrier_wait -1
	s_and_saveexec_b32 s7, s5
	s_cbranch_execz .LBB18_8
; %bb.7:
	v_lshl_or_b32 v5, v4, 4, 7
	s_delay_alu instid0(VALU_DEP_1) | instskip(NEXT) | instid1(VALU_DEP_1)
	v_min_u32_e32 v5, 0x1ff, v5
	v_dual_lshlrev_b32 v20, 6, v4 :: v_dual_lshlrev_b32 v5, 2, v5
	s_delay_alu instid0(VALU_DEP_1)
	v_add_nc_u32_e32 v21, -4, v20
	v_add_nc_u32_e32 v6, 0x400, v20
	v_add_nc_u32_e32 v8, 0xc00, v20
	v_subrev_nc_u32_e32 v12, 36, v20
	ds_load_b32 v18, v21
	ds_load_2addr_b32 v[6:7], v6 offset0:247 offset1:255
	ds_load_2addr_b32 v[8:9], v8 offset0:247 offset1:255
	ds_load_2addr_stride64_b32 v[10:11], v5 offset1:8
	ds_load_2addr_stride64_b32 v[14:15], v5 offset0:16 offset1:32
	ds_load_b32 v22, v12
	s_wait_dscnt 0x4
	v_div_scale_f32 v16, null, v6, v6, v18
	s_wait_dscnt 0x2
	v_div_scale_f32 v17, null, v11, v11, v9
	v_div_scale_f32 v24, vcc_lo, v18, v6, v18
	s_delay_alu instid0(VALU_DEP_3) | instskip(NEXT) | instid1(VALU_DEP_2)
	v_rcp_f32_e32 v19, v16
	v_rcp_f32_e32 v23, v17
	v_div_scale_f32 v25, s6, v9, v11, v9
	s_delay_alu instid0(TRANS32_DEP_2) | instskip(NEXT) | instid1(TRANS32_DEP_1)
	v_fma_f32 v12, -v16, v19, 1.0
	v_fma_f32 v13, -v17, v23, 1.0
	s_delay_alu instid0(VALU_DEP_2) | instskip(NEXT) | instid1(VALU_DEP_2)
	v_fmac_f32_e32 v19, v12, v19
	v_fmac_f32_e32 v23, v13, v23
	s_delay_alu instid0(VALU_DEP_2) | instskip(NEXT) | instid1(VALU_DEP_1)
	v_mul_f32_e32 v26, v24, v19
	v_dual_mul_f32 v27, v25, v23 :: v_dual_fma_f32 v28, -v16, v26, v24
	s_delay_alu instid0(VALU_DEP_1) | instskip(SKIP_1) | instid1(VALU_DEP_3)
	v_fma_f32 v5, -v17, v27, v25
	v_add_nc_u32_e32 v12, 0x1c00, v20
	v_fmac_f32_e32 v26, v28, v19
	s_delay_alu instid0(VALU_DEP_3) | instskip(SKIP_4) | instid1(VALU_DEP_2)
	v_fmac_f32_e32 v27, v5, v23
	ds_load_2addr_b32 v[12:13], v12 offset0:247 offset1:255
	v_dual_fma_f32 v5, -v16, v26, v24 :: v_dual_fma_f32 v16, -v17, v27, v25
	s_wait_dscnt 0x2
	v_mov_b32_e32 v17, v15
	v_div_fmas_f32 v5, v5, v19, v26
	s_mov_b32 vcc_lo, s6
	v_div_fmas_f32 v19, v16, v23, v27
	s_delay_alu instid0(VALU_DEP_2) | instskip(NEXT) | instid1(VALU_DEP_2)
	v_div_fixup_f32 v18, v5, v6, v18
	v_div_fixup_f32 v19, v19, v11, v9
	s_wait_dscnt 0x0
	v_dual_mov_b32 v9, v10 :: v_dual_mov_b32 v16, v12
	s_delay_alu instid0(VALU_DEP_1) | instskip(NEXT) | instid1(VALU_DEP_2)
	v_pk_mul_f32 v[8:9], v[18:19], v[8:9]
	v_pk_mul_f32 v[10:11], v[18:19], v[16:17]
	s_delay_alu instid0(VALU_DEP_2) | instskip(SKIP_1) | instid1(VALU_DEP_3)
	v_dual_sub_f32 v6, v7, v8 :: v_dual_mul_f32 v8, v18, -v22
	v_add_nc_u32_e32 v7, 0xfc, v20
	v_sub_f32_e32 v5, v13, v10
	s_delay_alu instid0(VALU_DEP_3) | instskip(NEXT) | instid1(VALU_DEP_2)
	v_dual_mul_f32 v10, v19, -v14 :: v_dual_sub_f32 v6, v6, v9
	v_sub_f32_e32 v5, v5, v11
	ds_store_b32 v20, v5 offset:8188
	ds_store_b32 v21, v8
	ds_store_2addr_stride64_b32 v7, v6, v10 offset0:7 offset1:15
.LBB18_8:
	s_or_b32 exec_lo, exec_lo, s7
	v_cmp_gt_u32_e64 s6, 16, v0
	s_wait_dscnt 0x0
	s_barrier_signal -1
	s_barrier_wait -1
	s_and_saveexec_b32 s8, s6
	s_cbranch_execz .LBB18_10
; %bb.9:
	v_lshl_or_b32 v5, v4, 5, 15
	s_delay_alu instid0(VALU_DEP_1) | instskip(NEXT) | instid1(VALU_DEP_1)
	v_min_u32_e32 v5, 0x1ff, v5
	v_dual_lshlrev_b32 v20, 7, v4 :: v_dual_lshlrev_b32 v5, 2, v5
	s_delay_alu instid0(VALU_DEP_1)
	v_add_nc_u32_e32 v21, -4, v20
	v_add_nc_u32_e32 v6, 0x400, v20
	v_add_nc_u32_e32 v8, 0xc00, v20
	ds_load_b32 v18, v21
	ds_load_2addr_b32 v[6:7], v6 offset0:239 offset1:255
	ds_load_2addr_b32 v[8:9], v8 offset0:239 offset1:255
	ds_load_2addr_stride64_b32 v[10:11], v5 offset1:8
	ds_load_2addr_stride64_b32 v[14:15], v5 offset0:16 offset1:32
	s_wait_dscnt 0x3
	v_div_scale_f32 v16, null, v6, v6, v18
	s_wait_dscnt 0x1
	v_div_scale_f32 v17, null, v11, v11, v9
	v_div_scale_f32 v25, s7, v9, v11, v9
	s_delay_alu instid0(VALU_DEP_3) | instskip(NEXT) | instid1(VALU_DEP_2)
	v_rcp_f32_e32 v19, v16
	v_rcp_f32_e32 v23, v17
	v_div_scale_f32 v24, vcc_lo, v18, v6, v18
	s_delay_alu instid0(TRANS32_DEP_1) | instskip(NEXT) | instid1(VALU_DEP_1)
	v_fma_f32 v13, -v17, v23, 1.0
	v_fmac_f32_e32 v23, v13, v23
	s_delay_alu instid0(VALU_DEP_1) | instskip(NEXT) | instid1(VALU_DEP_1)
	v_mul_f32_e32 v27, v25, v23
	v_fma_f32 v5, -v17, v27, v25
	s_delay_alu instid0(VALU_DEP_1) | instskip(SKIP_2) | instid1(VALU_DEP_1)
	v_dual_fmac_f32 v27, v5, v23 :: v_dual_add_nc_u32 v12, 0xffffffbc, v20
	ds_load_b32 v22, v12
	v_fma_f32 v12, -v16, v19, 1.0
	v_dual_fmac_f32 v19, v12, v19 :: v_dual_add_nc_u32 v12, 0x1c00, v20
	s_delay_alu instid0(VALU_DEP_1) | instskip(NEXT) | instid1(VALU_DEP_1)
	v_mul_f32_e32 v26, v24, v19
	v_fma_f32 v28, -v16, v26, v24
	s_delay_alu instid0(VALU_DEP_1) | instskip(NEXT) | instid1(VALU_DEP_1)
	v_fmac_f32_e32 v26, v28, v19
	v_dual_fma_f32 v5, -v16, v26, v24 :: v_dual_fma_f32 v16, -v17, v27, v25
	s_wait_dscnt 0x1
	v_mov_b32_e32 v17, v15
	ds_load_2addr_b32 v[12:13], v12 offset0:239 offset1:255
	v_div_fmas_f32 v5, v5, v19, v26
	s_mov_b32 vcc_lo, s7
	v_div_fmas_f32 v19, v16, v23, v27
	s_delay_alu instid0(VALU_DEP_2) | instskip(NEXT) | instid1(VALU_DEP_2)
	v_div_fixup_f32 v18, v5, v6, v18
	v_div_fixup_f32 v19, v19, v11, v9
	v_mov_b32_e32 v9, v10
	s_delay_alu instid0(VALU_DEP_1) | instskip(SKIP_1) | instid1(VALU_DEP_1)
	v_pk_mul_f32 v[8:9], v[18:19], v[8:9]
	s_wait_dscnt 0x0
	v_dual_mov_b32 v16, v12 :: v_dual_sub_f32 v6, v7, v8
	v_add_nc_u32_e32 v7, 0xfc, v20
	s_delay_alu instid0(VALU_DEP_2) | instskip(NEXT) | instid1(VALU_DEP_1)
	v_pk_mul_f32 v[10:11], v[18:19], v[16:17]
	v_dual_sub_f32 v6, v6, v9 :: v_dual_sub_f32 v5, v13, v10
	v_mul_f32_e64 v8, v18, -v22
	s_delay_alu instid0(VALU_DEP_2)
	v_dual_mul_f32 v10, v19, -v14 :: v_dual_sub_f32 v5, v5, v11
	ds_store_b32 v20, v5 offset:8188
	ds_store_b32 v21, v8
	ds_store_2addr_stride64_b32 v7, v6, v10 offset0:7 offset1:15
.LBB18_10:
	s_or_b32 exec_lo, exec_lo, s8
	v_cmp_gt_u32_e64 s7, 8, v0
	s_wait_dscnt 0x0
	s_barrier_signal -1
	s_barrier_wait -1
	s_and_saveexec_b32 s9, s7
	s_cbranch_execz .LBB18_12
; %bb.11:
	v_lshl_or_b32 v5, v4, 6, 31
	s_delay_alu instid0(VALU_DEP_1) | instskip(NEXT) | instid1(VALU_DEP_1)
	v_min_u32_e32 v5, 0x1ff, v5
	v_dual_lshlrev_b32 v20, 8, v4 :: v_dual_lshlrev_b32 v5, 2, v5
	s_delay_alu instid0(VALU_DEP_1)
	v_add_nc_u32_e32 v21, -4, v20
	v_add_nc_u32_e32 v6, 0x400, v20
	v_add_nc_u32_e32 v8, 0xc00, v20
	ds_load_b32 v18, v21
	ds_load_2addr_b32 v[6:7], v6 offset0:223 offset1:255
	ds_load_2addr_b32 v[8:9], v8 offset0:223 offset1:255
	ds_load_2addr_stride64_b32 v[10:11], v5 offset1:8
	ds_load_2addr_stride64_b32 v[14:15], v5 offset0:16 offset1:32
	s_wait_dscnt 0x3
	v_div_scale_f32 v16, null, v6, v6, v18
	s_wait_dscnt 0x1
	v_div_scale_f32 v17, null, v11, v11, v9
	v_div_scale_f32 v25, s8, v9, v11, v9
	s_delay_alu instid0(VALU_DEP_3) | instskip(NEXT) | instid1(VALU_DEP_2)
	v_rcp_f32_e32 v19, v16
	v_rcp_f32_e32 v23, v17
	v_div_scale_f32 v24, vcc_lo, v18, v6, v18
	s_delay_alu instid0(TRANS32_DEP_1) | instskip(NEXT) | instid1(VALU_DEP_1)
	v_fma_f32 v13, -v17, v23, 1.0
	v_fmac_f32_e32 v23, v13, v23
	s_delay_alu instid0(VALU_DEP_1) | instskip(NEXT) | instid1(VALU_DEP_1)
	v_mul_f32_e32 v27, v25, v23
	v_fma_f32 v5, -v17, v27, v25
	s_delay_alu instid0(VALU_DEP_1) | instskip(SKIP_2) | instid1(VALU_DEP_1)
	v_dual_fmac_f32 v27, v5, v23 :: v_dual_add_nc_u32 v12, 0xffffff7c, v20
	ds_load_b32 v22, v12
	v_fma_f32 v12, -v16, v19, 1.0
	v_dual_fmac_f32 v19, v12, v19 :: v_dual_add_nc_u32 v12, 0x1c00, v20
	s_delay_alu instid0(VALU_DEP_1) | instskip(NEXT) | instid1(VALU_DEP_1)
	v_mul_f32_e32 v26, v24, v19
	v_fma_f32 v28, -v16, v26, v24
	s_delay_alu instid0(VALU_DEP_1) | instskip(NEXT) | instid1(VALU_DEP_1)
	v_fmac_f32_e32 v26, v28, v19
	v_dual_fma_f32 v5, -v16, v26, v24 :: v_dual_fma_f32 v16, -v17, v27, v25
	s_wait_dscnt 0x1
	v_mov_b32_e32 v17, v15
	ds_load_2addr_b32 v[12:13], v12 offset0:223 offset1:255
	v_div_fmas_f32 v5, v5, v19, v26
	s_mov_b32 vcc_lo, s8
	v_div_fmas_f32 v19, v16, v23, v27
	s_delay_alu instid0(VALU_DEP_2) | instskip(NEXT) | instid1(VALU_DEP_2)
	v_div_fixup_f32 v18, v5, v6, v18
	v_div_fixup_f32 v19, v19, v11, v9
	v_mov_b32_e32 v9, v10
	s_delay_alu instid0(VALU_DEP_1) | instskip(SKIP_1) | instid1(VALU_DEP_1)
	v_pk_mul_f32 v[8:9], v[18:19], v[8:9]
	s_wait_dscnt 0x0
	v_dual_mov_b32 v16, v12 :: v_dual_sub_f32 v6, v7, v8
	v_add_nc_u32_e32 v7, 0xfc, v20
	s_delay_alu instid0(VALU_DEP_2) | instskip(NEXT) | instid1(VALU_DEP_1)
	v_pk_mul_f32 v[10:11], v[18:19], v[16:17]
	v_dual_sub_f32 v6, v6, v9 :: v_dual_sub_f32 v5, v13, v10
	v_mul_f32_e64 v8, v18, -v22
	s_delay_alu instid0(VALU_DEP_2)
	v_dual_mul_f32 v10, v19, -v14 :: v_dual_sub_f32 v5, v5, v11
	ds_store_b32 v20, v5 offset:8188
	ds_store_b32 v21, v8
	ds_store_2addr_stride64_b32 v7, v6, v10 offset0:7 offset1:15
.LBB18_12:
	s_or_b32 exec_lo, exec_lo, s9
	v_cmp_gt_u32_e64 s9, 4, v0
	s_wait_dscnt 0x0
	s_barrier_signal -1
	s_barrier_wait -1
	s_and_saveexec_b32 s10, s9
	s_cbranch_execz .LBB18_14
; %bb.13:
	v_lshl_or_b32 v5, v4, 7, 63
	s_delay_alu instid0(VALU_DEP_1) | instskip(NEXT) | instid1(VALU_DEP_1)
	v_min_u32_e32 v5, 0x1ff, v5
	v_dual_lshlrev_b32 v20, 9, v4 :: v_dual_lshlrev_b32 v5, 2, v5
	s_delay_alu instid0(VALU_DEP_1)
	v_add_nc_u32_e32 v21, -4, v20
	v_add_nc_u32_e32 v22, 0xfc, v20
	v_add_nc_u32_e32 v14, 0xfffffefc, v20
	ds_load_b32 v18, v21
	ds_load_2addr_stride64_b32 v[6:7], v22 offset0:6 offset1:7
	ds_load_2addr_stride64_b32 v[8:9], v22 offset0:14 offset1:15
	ds_load_2addr_stride64_b32 v[10:11], v5 offset1:8
	ds_load_2addr_stride64_b32 v[12:13], v22 offset0:30 offset1:31
	ds_load_b32 v23, v14
	s_wait_dscnt 0x4
	v_div_scale_f32 v16, null, v6, v6, v18
	s_wait_dscnt 0x2
	v_div_scale_f32 v17, null, v11, v11, v9
	v_div_scale_f32 v25, vcc_lo, v18, v6, v18
	s_delay_alu instid0(VALU_DEP_3) | instskip(NEXT) | instid1(VALU_DEP_2)
	v_rcp_f32_e32 v19, v16
	v_rcp_f32_e32 v24, v17
	v_div_scale_f32 v26, s8, v9, v11, v9
	s_delay_alu instid0(TRANS32_DEP_2) | instskip(NEXT) | instid1(TRANS32_DEP_1)
	v_fma_f32 v14, -v16, v19, 1.0
	v_fma_f32 v15, -v17, v24, 1.0
	s_delay_alu instid0(VALU_DEP_2) | instskip(NEXT) | instid1(VALU_DEP_1)
	v_fmac_f32_e32 v19, v14, v19
	v_dual_mul_f32 v27, v25, v19 :: v_dual_fmac_f32 v24, v15, v24
	ds_load_2addr_stride64_b32 v[14:15], v5 offset0:16 offset1:32
	v_fma_f32 v29, -v16, v27, v25
	s_delay_alu instid0(VALU_DEP_1) | instskip(NEXT) | instid1(VALU_DEP_1)
	v_dual_fmac_f32 v27, v29, v19 :: v_dual_mul_f32 v28, v26, v24
	v_fma_f32 v5, -v17, v28, v26
	s_delay_alu instid0(VALU_DEP_1) | instskip(NEXT) | instid1(VALU_DEP_1)
	v_dual_fmac_f32 v28, v5, v24 :: v_dual_fma_f32 v5, -v16, v27, v25
	v_fma_f32 v16, -v17, v28, v26
	s_delay_alu instid0(VALU_DEP_2)
	v_div_fmas_f32 v5, v5, v19, v27
	s_mov_b32 vcc_lo, s8
	s_wait_dscnt 0x0
	v_mov_b32_e32 v17, v15
	v_div_fmas_f32 v19, v16, v24, v28
	v_mov_b32_e32 v16, v12
	v_div_fixup_f32 v18, v5, v6, v18
	s_delay_alu instid0(VALU_DEP_3) | instskip(SKIP_1) | instid1(VALU_DEP_2)
	v_div_fixup_f32 v19, v19, v11, v9
	v_mov_b32_e32 v9, v10
	v_pk_mul_f32 v[10:11], v[18:19], v[16:17]
	s_delay_alu instid0(VALU_DEP_2) | instskip(NEXT) | instid1(VALU_DEP_1)
	v_pk_mul_f32 v[8:9], v[18:19], v[8:9]
	v_dual_sub_f32 v5, v13, v10 :: v_dual_sub_f32 v6, v7, v8
	v_dual_mul_f32 v7, v18, -v23 :: v_dual_mul_f32 v8, v19, -v14
	s_delay_alu instid0(VALU_DEP_2)
	v_dual_sub_f32 v5, v5, v11 :: v_dual_sub_f32 v6, v6, v9
	ds_store_b32 v20, v5 offset:8188
	ds_store_b32 v21, v7
	ds_store_2addr_stride64_b32 v22, v6, v8 offset0:7 offset1:15
.LBB18_14:
	s_or_b32 exec_lo, exec_lo, s10
	v_cmp_gt_u32_e64 s10, 2, v0
	s_wait_dscnt 0x0
	s_barrier_signal -1
	s_barrier_wait -1
	s_and_saveexec_b32 s12, s10
	s_cbranch_execz .LBB18_16
; %bb.15:
	v_lshl_or_b32 v5, v4, 8, 0x7f
	v_lshlrev_b32_e32 v18, 10, v4
	s_delay_alu instid0(VALU_DEP_2) | instskip(NEXT) | instid1(VALU_DEP_1)
	v_min_u32_e32 v4, 0x1ff, v5
	v_dual_lshlrev_b32 v12, 2, v4 :: v_dual_add_nc_u32 v19, -4, v18
	v_add_nc_u32_e32 v20, 0xfc, v18
	v_add_nc_u32_e32 v10, 0xfffffdfc, v18
	ds_load_b32 v16, v19
	ds_load_2addr_stride64_b32 v[4:5], v20 offset0:5 offset1:7
	ds_load_2addr_stride64_b32 v[6:7], v20 offset0:13 offset1:15
	ds_load_2addr_stride64_b32 v[8:9], v12 offset1:8
	ds_load_2addr_stride64_b32 v[12:13], v12 offset0:16 offset1:32
	ds_load_b32 v21, v10
	s_wait_dscnt 0x4
	v_div_scale_f32 v14, null, v4, v4, v16
	s_wait_dscnt 0x2
	v_div_scale_f32 v15, null, v9, v9, v7
	v_div_scale_f32 v23, vcc_lo, v16, v4, v16
	s_delay_alu instid0(VALU_DEP_3) | instskip(NEXT) | instid1(VALU_DEP_2)
	v_rcp_f32_e32 v17, v14
	v_rcp_f32_e32 v22, v15
	v_div_scale_f32 v24, s8, v7, v9, v7
	s_delay_alu instid0(TRANS32_DEP_2) | instskip(NEXT) | instid1(TRANS32_DEP_1)
	v_fma_f32 v10, -v14, v17, 1.0
	v_fma_f32 v11, -v15, v22, 1.0
	s_delay_alu instid0(VALU_DEP_2) | instskip(NEXT) | instid1(VALU_DEP_1)
	v_fmac_f32_e32 v17, v10, v17
	v_mul_f32_e32 v25, v23, v17
	s_delay_alu instid0(VALU_DEP_3) | instskip(SKIP_2) | instid1(VALU_DEP_1)
	v_fmac_f32_e32 v22, v11, v22
	ds_load_2addr_stride64_b32 v[10:11], v20 offset0:29 offset1:31
	v_fma_f32 v27, -v14, v25, v23
	v_dual_fmac_f32 v25, v27, v17 :: v_dual_mul_f32 v26, v24, v22
	s_delay_alu instid0(VALU_DEP_1) | instskip(NEXT) | instid1(VALU_DEP_1)
	v_dual_fma_f32 v14, -v14, v25, v23 :: v_dual_fma_f32 v28, -v15, v26, v24
	v_div_fmas_f32 v17, v14, v17, v25
	s_wait_dscnt 0x0
	s_delay_alu instid0(VALU_DEP_2) | instskip(SKIP_1) | instid1(VALU_DEP_2)
	v_dual_fmac_f32 v26, v28, v22 :: v_dual_mov_b32 v14, v10
	s_mov_b32 vcc_lo, s8
	v_div_fixup_f32 v16, v17, v4, v16
	s_delay_alu instid0(VALU_DEP_2) | instskip(NEXT) | instid1(VALU_DEP_1)
	v_fma_f32 v15, -v15, v26, v24
	v_div_fmas_f32 v22, v15, v22, v26
	v_mov_b32_e32 v15, v13
	s_delay_alu instid0(VALU_DEP_2) | instskip(SKIP_1) | instid1(VALU_DEP_2)
	v_div_fixup_f32 v17, v22, v9, v7
	v_mov_b32_e32 v7, v8
	v_pk_mul_f32 v[8:9], v[16:17], v[14:15]
	s_delay_alu instid0(VALU_DEP_2) | instskip(NEXT) | instid1(VALU_DEP_1)
	v_pk_mul_f32 v[6:7], v[16:17], v[6:7]
	v_dual_sub_f32 v4, v11, v8 :: v_dual_sub_f32 v5, v5, v6
	v_dual_mul_f32 v6, v16, -v21 :: v_dual_mul_f32 v8, v17, -v12
	s_delay_alu instid0(VALU_DEP_2)
	v_dual_sub_f32 v4, v4, v9 :: v_dual_sub_f32 v5, v5, v7
	ds_store_b32 v18, v4 offset:8188
	ds_store_b32 v19, v6
	ds_store_2addr_stride64_b32 v20, v5, v8 offset0:7 offset1:15
.LBB18_16:
	s_or_b32 exec_lo, exec_lo, s12
	v_cmp_ne_u32_e64 s8, 0, v0
	s_mov_b32 s12, exec_lo
	s_wait_dscnt 0x0
	s_barrier_signal -1
	s_barrier_wait -1
	v_cmpx_eq_u32_e32 0, v0
	s_cbranch_execz .LBB18_18
; %bb.17:
	v_add_nc_u32_e64 v10, 0xfc, 0
	ds_load_2addr_stride64_b32 v[4:5], v10 offset0:15 offset1:19
	ds_load_2addr_stride64_b32 v[6:7], v10 offset0:7 offset1:11
	s_wait_dscnt 0x0
	v_mul_f32_e32 v8, v5, v6
	s_delay_alu instid0(VALU_DEP_1) | instskip(NEXT) | instid1(VALU_DEP_1)
	v_xor_b32_e32 v11, 0x80000000, v8
	v_fmac_f32_e32 v11, v4, v7
	s_delay_alu instid0(VALU_DEP_1) | instskip(SKIP_1) | instid1(VALU_DEP_2)
	v_div_scale_f32 v8, null, v11, v11, 1.0
	v_div_scale_f32 v15, vcc_lo, 1.0, v11, 1.0
	v_rcp_f32_e32 v12, v8
	v_xor_b32_e32 v13, 0x80000000, v8
	ds_load_2addr_stride64_b32 v[8:9], v10 offset0:35 offset1:39
	v_fma_f32 v14, v13, v12, 1.0
	s_delay_alu instid0(VALU_DEP_1) | instskip(SKIP_1) | instid1(VALU_DEP_1)
	v_fmac_f32_e32 v12, v14, v12
	s_wait_dscnt 0x0
	v_dual_mul_f32 v14, v15, v12 :: v_dual_mul_f32 v5, v5, v9
	s_delay_alu instid0(VALU_DEP_1) | instskip(NEXT) | instid1(VALU_DEP_2)
	v_dual_fma_f32 v16, v13, v14, v15 :: v_dual_mul_f32 v6, v6, v8
	v_xor_b32_e32 v5, 0x80000000, v5
	s_delay_alu instid0(VALU_DEP_2) | instskip(NEXT) | instid1(VALU_DEP_3)
	v_fmac_f32_e32 v14, v16, v12
	v_xor_b32_e32 v6, 0x80000000, v6
	s_delay_alu instid0(VALU_DEP_2) | instskip(NEXT) | instid1(VALU_DEP_2)
	v_dual_fmac_f32 v5, v4, v8 :: v_dual_fmac_f32 v15, v13, v14
	v_fmac_f32_e32 v6, v7, v9
	s_delay_alu instid0(VALU_DEP_2) | instskip(NEXT) | instid1(VALU_DEP_1)
	v_div_fmas_f32 v12, v15, v12, v14
	v_div_fixup_f32 v4, v12, v11, 1.0
	s_delay_alu instid0(VALU_DEP_1)
	v_dual_mul_f32 v5, v4, v5 :: v_dual_mul_f32 v4, v4, v6
	ds_store_2addr_stride64_b32 v10, v5, v4 offset0:27 offset1:31
.LBB18_18:
	s_or_b32 exec_lo, exec_lo, s12
	s_load_b64 s[12:13], s[0:1], 0x30
	v_lshlrev_b32_e32 v5, 8, v0
	s_wait_dscnt 0x0
	s_barrier_signal -1
	s_barrier_wait -1
	s_and_saveexec_b32 s14, s10
	s_cbranch_execz .LBB18_22
; %bb.19:
	v_lshlrev_b32_e32 v4, 10, v0
	ds_load_b32 v6, v4 offset:8700
	v_lshlrev_b32_e32 v4, 2, v5
	s_and_saveexec_b32 s10, s8
	s_cbranch_execz .LBB18_21
; %bb.20:
	s_delay_alu instid0(VALU_DEP_1)
	v_add_nc_u32_e32 v7, 0xfc, v4
	ds_load_2addr_stride64_b32 v[8:9], v7 offset0:1 offset1:23
	s_wait_dscnt 0x0
	v_fma_f32 v6, -v8, v9, v6
.LBB18_21:
	s_or_b32 exec_lo, exec_lo, s10
	s_delay_alu instid0(VALU_DEP_1) | instskip(SKIP_4) | instid1(VALU_DEP_1)
	v_add_nc_u32_e32 v7, 0xfc, v4
	ds_load_b32 v10, v4 offset:7164
	ds_load_2addr_stride64_b32 v[8:9], v7 offset0:9 offset1:17
	s_wait_dscnt 0x0
	v_fma_f32 v6, -v9, v10, v6
	v_div_scale_f32 v7, null, v8, v8, v6
	s_delay_alu instid0(VALU_DEP_1) | instskip(SKIP_1) | instid1(TRANS32_DEP_1)
	v_rcp_f32_e32 v9, v7
	v_nop
	v_fma_f32 v10, -v7, v9, 1.0
	s_delay_alu instid0(VALU_DEP_1) | instskip(SKIP_1) | instid1(VALU_DEP_1)
	v_fmac_f32_e32 v9, v10, v9
	v_div_scale_f32 v10, vcc_lo, v6, v8, v6
	v_mul_f32_e32 v11, v10, v9
	s_delay_alu instid0(VALU_DEP_1) | instskip(NEXT) | instid1(VALU_DEP_1)
	v_fma_f32 v12, -v7, v11, v10
	v_fmac_f32_e32 v11, v12, v9
	s_delay_alu instid0(VALU_DEP_1) | instskip(NEXT) | instid1(VALU_DEP_1)
	v_fma_f32 v7, -v7, v11, v10
	v_div_fmas_f32 v7, v7, v9, v11
	s_delay_alu instid0(VALU_DEP_1)
	v_div_fixup_f32 v6, v7, v8, v6
	ds_store_b32 v4, v6 offset:6652
.LBB18_22:
	s_or_b32 exec_lo, exec_lo, s14
	v_or_b32_e32 v4, 0x1800, v3
	v_lshlrev_b32_e32 v6, 7, v0
	s_wait_dscnt 0x0
	s_barrier_signal -1
	s_barrier_wait -1
	s_and_saveexec_b32 s10, s9
	s_cbranch_execz .LBB18_26
; %bb.23:
	v_lshlrev_b32_e32 v7, 9, v0
	ds_load_b32 v8, v7 offset:8444
	v_lshlrev_b32_e32 v7, 2, v6
	s_and_saveexec_b32 s9, s8
	s_cbranch_execz .LBB18_25
; %bb.24:
	s_delay_alu instid0(VALU_DEP_1)
	v_add_nc_u32_e32 v9, 0xfc, v7
	ds_load_2addr_stride64_b32 v[10:11], v9 offset1:23
	s_wait_dscnt 0x0
	v_fma_f32 v8, -v10, v11, v8
.LBB18_25:
	s_or_b32 exec_lo, exec_lo, s9
	s_delay_alu instid0(VALU_DEP_1) | instskip(SKIP_4) | instid1(VALU_DEP_1)
	v_add_nc_u32_e32 v9, 0xfc, v7
	ds_load_b32 v12, v7 offset:6652
	ds_load_2addr_stride64_b32 v[10:11], v9 offset0:8 offset1:16
	s_wait_dscnt 0x0
	v_fma_f32 v8, -v11, v12, v8
	v_div_scale_f32 v9, null, v10, v10, v8
	s_delay_alu instid0(VALU_DEP_1) | instskip(SKIP_1) | instid1(TRANS32_DEP_1)
	v_rcp_f32_e32 v11, v9
	v_nop
	v_fma_f32 v12, -v9, v11, 1.0
	s_delay_alu instid0(VALU_DEP_1) | instskip(SKIP_1) | instid1(VALU_DEP_1)
	v_fmac_f32_e32 v11, v12, v11
	v_div_scale_f32 v12, vcc_lo, v8, v10, v8
	v_mul_f32_e32 v13, v12, v11
	s_delay_alu instid0(VALU_DEP_1) | instskip(NEXT) | instid1(VALU_DEP_1)
	v_fma_f32 v14, -v9, v13, v12
	v_fmac_f32_e32 v13, v14, v11
	s_delay_alu instid0(VALU_DEP_1) | instskip(NEXT) | instid1(VALU_DEP_1)
	v_fma_f32 v9, -v9, v13, v12
	v_div_fmas_f32 v9, v9, v11, v13
	s_delay_alu instid0(VALU_DEP_1)
	v_div_fixup_f32 v8, v9, v10, v8
	ds_store_b32 v7, v8 offset:6396
.LBB18_26:
	s_or_b32 exec_lo, exec_lo, s10
	v_lshlrev_b32_e32 v7, 6, v0
	s_wait_dscnt 0x0
	s_barrier_signal -1
	s_barrier_wait -1
	s_and_saveexec_b32 s9, s7
	s_cbranch_execz .LBB18_30
; %bb.27:
	ds_load_b32 v8, v5 offset:8316
	v_lshlrev_b32_e32 v5, 2, v7
	s_and_saveexec_b32 s7, s8
	s_cbranch_execz .LBB18_29
; %bb.28:
	ds_load_b32 v9, v5 offset:124
	ds_load_b32 v10, v5 offset:6140
	s_wait_dscnt 0x0
	v_fma_f32 v8, -v9, v10, v8
.LBB18_29:
	s_or_b32 exec_lo, exec_lo, s7
	s_delay_alu instid0(VALU_DEP_1) | instskip(SKIP_4) | instid1(VALU_DEP_1)
	v_add_nc_u32_e32 v9, 0x7c, v5
	ds_load_b32 v12, v5 offset:6396
	ds_load_2addr_stride64_b32 v[10:11], v9 offset0:8 offset1:16
	s_wait_dscnt 0x0
	v_fma_f32 v8, -v11, v12, v8
	v_div_scale_f32 v9, null, v10, v10, v8
	s_delay_alu instid0(VALU_DEP_1) | instskip(SKIP_1) | instid1(TRANS32_DEP_1)
	v_rcp_f32_e32 v11, v9
	v_nop
	v_fma_f32 v12, -v9, v11, 1.0
	s_delay_alu instid0(VALU_DEP_1) | instskip(SKIP_1) | instid1(VALU_DEP_1)
	v_fmac_f32_e32 v11, v12, v11
	v_div_scale_f32 v12, vcc_lo, v8, v10, v8
	v_mul_f32_e32 v13, v12, v11
	s_delay_alu instid0(VALU_DEP_1) | instskip(NEXT) | instid1(VALU_DEP_1)
	v_fma_f32 v14, -v9, v13, v12
	v_fmac_f32_e32 v13, v14, v11
	s_delay_alu instid0(VALU_DEP_1) | instskip(NEXT) | instid1(VALU_DEP_1)
	v_fma_f32 v9, -v9, v13, v12
	v_div_fmas_f32 v9, v9, v11, v13
	s_delay_alu instid0(VALU_DEP_1)
	v_div_fixup_f32 v8, v9, v10, v8
	ds_store_b32 v5, v8 offset:6268
.LBB18_30:
	s_or_b32 exec_lo, exec_lo, s9
	v_lshlrev_b32_e32 v5, 5, v0
	s_wait_dscnt 0x0
	s_barrier_signal -1
	s_barrier_wait -1
	s_and_saveexec_b32 s7, s6
	s_cbranch_execz .LBB18_34
; %bb.31:
	ds_load_b32 v8, v6 offset:8252
	v_lshlrev_b32_e32 v6, 2, v5
	s_and_saveexec_b32 s6, s8
	s_cbranch_execz .LBB18_33
; %bb.32:
	ds_load_b32 v9, v6 offset:60
	ds_load_b32 v10, v6 offset:6140
	s_wait_dscnt 0x0
	v_fma_f32 v8, -v9, v10, v8
.LBB18_33:
	s_or_b32 exec_lo, exec_lo, s6
	s_delay_alu instid0(VALU_DEP_1) | instskip(SKIP_4) | instid1(VALU_DEP_1)
	v_add_nc_u32_e32 v9, 60, v6
	ds_load_b32 v12, v6 offset:6268
	ds_load_2addr_stride64_b32 v[10:11], v9 offset0:8 offset1:16
	s_wait_dscnt 0x0
	v_fma_f32 v8, -v11, v12, v8
	v_div_scale_f32 v9, null, v10, v10, v8
	s_delay_alu instid0(VALU_DEP_1) | instskip(SKIP_1) | instid1(TRANS32_DEP_1)
	v_rcp_f32_e32 v11, v9
	v_nop
	v_fma_f32 v12, -v9, v11, 1.0
	s_delay_alu instid0(VALU_DEP_1) | instskip(SKIP_1) | instid1(VALU_DEP_1)
	v_fmac_f32_e32 v11, v12, v11
	v_div_scale_f32 v12, vcc_lo, v8, v10, v8
	v_mul_f32_e32 v13, v12, v11
	s_delay_alu instid0(VALU_DEP_1) | instskip(NEXT) | instid1(VALU_DEP_1)
	v_fma_f32 v14, -v9, v13, v12
	v_fmac_f32_e32 v13, v14, v11
	s_delay_alu instid0(VALU_DEP_1) | instskip(NEXT) | instid1(VALU_DEP_1)
	v_fma_f32 v9, -v9, v13, v12
	v_div_fmas_f32 v9, v9, v11, v13
	s_delay_alu instid0(VALU_DEP_1)
	v_div_fixup_f32 v8, v9, v10, v8
	ds_store_b32 v6, v8 offset:6204
.LBB18_34:
	;; [unrolled: 44-line block ×4, first 2 shown]
	s_or_b32 exec_lo, exec_lo, s5
	s_wait_dscnt 0x0
	s_barrier_signal -1
	s_barrier_wait -1
	s_and_saveexec_b32 s4, s3
	s_cbranch_execz .LBB18_46
; %bb.43:
	ds_load_b32 v5, v6 offset:8196
	v_lshlrev_b32_e32 v3, 2, v3
	s_and_saveexec_b32 s3, s8
	s_cbranch_execz .LBB18_45
; %bb.44:
	ds_load_b32 v6, v3 offset:4
	ds_load_b32 v8, v3 offset:6140
	s_wait_dscnt 0x0
	v_fma_f32 v5, -v6, v8, v5
.LBB18_45:
	s_or_b32 exec_lo, exec_lo, s3
	s_delay_alu instid0(VALU_DEP_1) | instskip(SKIP_4) | instid1(VALU_DEP_1)
	v_add_nc_u32_e32 v6, 4, v3
	ds_load_b32 v10, v3 offset:6156
	ds_load_2addr_stride64_b32 v[8:9], v6 offset0:8 offset1:16
	s_wait_dscnt 0x0
	v_fma_f32 v5, -v9, v10, v5
	v_div_scale_f32 v6, null, v8, v8, v5
	s_delay_alu instid0(VALU_DEP_1) | instskip(SKIP_1) | instid1(TRANS32_DEP_1)
	v_rcp_f32_e32 v9, v6
	v_nop
	v_fma_f32 v10, -v6, v9, 1.0
	s_delay_alu instid0(VALU_DEP_1) | instskip(SKIP_1) | instid1(VALU_DEP_1)
	v_fmac_f32_e32 v9, v10, v9
	v_div_scale_f32 v10, vcc_lo, v5, v8, v5
	v_mul_f32_e32 v11, v10, v9
	s_delay_alu instid0(VALU_DEP_1) | instskip(NEXT) | instid1(VALU_DEP_1)
	v_fma_f32 v12, -v6, v11, v10
	v_fmac_f32_e32 v11, v12, v9
	s_delay_alu instid0(VALU_DEP_1) | instskip(NEXT) | instid1(VALU_DEP_1)
	v_fma_f32 v6, -v6, v11, v10
	v_div_fmas_f32 v6, v6, v9, v11
	s_delay_alu instid0(VALU_DEP_1)
	v_div_fixup_f32 v5, v6, v8, v5
	ds_store_b32 v3, v5 offset:6148
.LBB18_46:
	s_or_b32 exec_lo, exec_lo, s4
	s_wait_dscnt 0x0
	s_barrier_signal -1
	s_barrier_wait -1
	s_and_saveexec_b32 s3, s2
	s_cbranch_execz .LBB18_50
; %bb.47:
	ds_load_b32 v3, v7 offset:8192
	v_lshlrev_b32_e32 v0, 1, v0
	s_delay_alu instid0(VALU_DEP_1)
	v_lshlrev_b32_e32 v0, 2, v0
	s_and_saveexec_b32 s2, s8
	s_cbranch_execz .LBB18_49
; %bb.48:
	ds_load_b32 v5, v0
	ds_load_b32 v6, v0 offset:6140
	s_wait_dscnt 0x0
	v_fma_f32 v3, -v5, v6, v3
.LBB18_49:
	s_or_b32 exec_lo, exec_lo, s2
	ds_load_2addr_stride64_b32 v[6:7], v0 offset0:8 offset1:16
	ds_load_b32 v5, v0 offset:6148
	s_wait_dscnt 0x0
	v_fma_f32 v3, -v7, v5, v3
	s_delay_alu instid0(VALU_DEP_1) | instskip(NEXT) | instid1(VALU_DEP_1)
	v_div_scale_f32 v5, null, v6, v6, v3
	v_rcp_f32_e32 v7, v5
	v_nop
	s_delay_alu instid0(TRANS32_DEP_1) | instskip(NEXT) | instid1(VALU_DEP_1)
	v_fma_f32 v8, -v5, v7, 1.0
	v_fmac_f32_e32 v7, v8, v7
	v_div_scale_f32 v8, vcc_lo, v3, v6, v3
	s_delay_alu instid0(VALU_DEP_1) | instskip(NEXT) | instid1(VALU_DEP_1)
	v_mul_f32_e32 v9, v8, v7
	v_fma_f32 v10, -v5, v9, v8
	s_delay_alu instid0(VALU_DEP_1) | instskip(NEXT) | instid1(VALU_DEP_1)
	v_fmac_f32_e32 v9, v10, v7
	v_fma_f32 v5, -v5, v9, v8
	s_delay_alu instid0(VALU_DEP_1) | instskip(NEXT) | instid1(VALU_DEP_1)
	v_div_fmas_f32 v5, v5, v7, v9
	v_div_fixup_f32 v3, v5, v6, v3
	ds_store_b32 v0, v3 offset:6144
.LBB18_50:
	s_or_b32 exec_lo, exec_lo, s3
	s_wait_xcnt 0x0
	s_load_b32 s0, s[0:1], 0x8
	s_wait_dscnt 0x0
	s_barrier_signal -1
	s_barrier_wait -1
	ds_load_2addr_stride64_b32 v[4:5], v4 offset1:4
	s_wait_kmcnt 0x0
	s_mul_i32 s0, s0, s11
	s_delay_alu instid0(SALU_CYCLE_1)
	v_dual_add_nc_u32 v0, s0, v1 :: v_dual_add_nc_u32 v1, s0, v2
	s_wait_dscnt 0x0
	s_clause 0x1
	global_store_b32 v0, v4, s[12:13] scale_offset
	global_store_b32 v1, v5, s[12:13] scale_offset
	s_endpgm
	.section	.rodata,"a",@progbits
	.p2align	6, 0x0
	.amdhsa_kernel _ZN9rocsparseL48gtsv_nopivot_strided_batch_cr_pow2_stage2_kernelILj256EfEEviiiPKT0_S3_S3_S3_PS1_
		.amdhsa_group_segment_fixed_size 10240
		.amdhsa_private_segment_fixed_size 0
		.amdhsa_kernarg_size 312
		.amdhsa_user_sgpr_count 2
		.amdhsa_user_sgpr_dispatch_ptr 0
		.amdhsa_user_sgpr_queue_ptr 0
		.amdhsa_user_sgpr_kernarg_segment_ptr 1
		.amdhsa_user_sgpr_dispatch_id 0
		.amdhsa_user_sgpr_kernarg_preload_length 0
		.amdhsa_user_sgpr_kernarg_preload_offset 0
		.amdhsa_user_sgpr_private_segment_size 0
		.amdhsa_wavefront_size32 1
		.amdhsa_uses_dynamic_stack 0
		.amdhsa_enable_private_segment 0
		.amdhsa_system_sgpr_workgroup_id_x 1
		.amdhsa_system_sgpr_workgroup_id_y 1
		.amdhsa_system_sgpr_workgroup_id_z 0
		.amdhsa_system_sgpr_workgroup_info 0
		.amdhsa_system_vgpr_workitem_id 0
		.amdhsa_next_free_vgpr 30
		.amdhsa_next_free_sgpr 20
		.amdhsa_named_barrier_count 0
		.amdhsa_reserve_vcc 1
		.amdhsa_float_round_mode_32 0
		.amdhsa_float_round_mode_16_64 0
		.amdhsa_float_denorm_mode_32 3
		.amdhsa_float_denorm_mode_16_64 3
		.amdhsa_fp16_overflow 0
		.amdhsa_memory_ordered 1
		.amdhsa_forward_progress 1
		.amdhsa_inst_pref_size 47
		.amdhsa_round_robin_scheduling 0
		.amdhsa_exception_fp_ieee_invalid_op 0
		.amdhsa_exception_fp_denorm_src 0
		.amdhsa_exception_fp_ieee_div_zero 0
		.amdhsa_exception_fp_ieee_overflow 0
		.amdhsa_exception_fp_ieee_underflow 0
		.amdhsa_exception_fp_ieee_inexact 0
		.amdhsa_exception_int_div_zero 0
	.end_amdhsa_kernel
	.section	.text._ZN9rocsparseL48gtsv_nopivot_strided_batch_cr_pow2_stage2_kernelILj256EfEEviiiPKT0_S3_S3_S3_PS1_,"axG",@progbits,_ZN9rocsparseL48gtsv_nopivot_strided_batch_cr_pow2_stage2_kernelILj256EfEEviiiPKT0_S3_S3_S3_PS1_,comdat
.Lfunc_end18:
	.size	_ZN9rocsparseL48gtsv_nopivot_strided_batch_cr_pow2_stage2_kernelILj256EfEEviiiPKT0_S3_S3_S3_PS1_, .Lfunc_end18-_ZN9rocsparseL48gtsv_nopivot_strided_batch_cr_pow2_stage2_kernelILj256EfEEviiiPKT0_S3_S3_S3_PS1_
                                        ; -- End function
	.set _ZN9rocsparseL48gtsv_nopivot_strided_batch_cr_pow2_stage2_kernelILj256EfEEviiiPKT0_S3_S3_S3_PS1_.num_vgpr, 30
	.set _ZN9rocsparseL48gtsv_nopivot_strided_batch_cr_pow2_stage2_kernelILj256EfEEviiiPKT0_S3_S3_S3_PS1_.num_agpr, 0
	.set _ZN9rocsparseL48gtsv_nopivot_strided_batch_cr_pow2_stage2_kernelILj256EfEEviiiPKT0_S3_S3_S3_PS1_.numbered_sgpr, 20
	.set _ZN9rocsparseL48gtsv_nopivot_strided_batch_cr_pow2_stage2_kernelILj256EfEEviiiPKT0_S3_S3_S3_PS1_.num_named_barrier, 0
	.set _ZN9rocsparseL48gtsv_nopivot_strided_batch_cr_pow2_stage2_kernelILj256EfEEviiiPKT0_S3_S3_S3_PS1_.private_seg_size, 0
	.set _ZN9rocsparseL48gtsv_nopivot_strided_batch_cr_pow2_stage2_kernelILj256EfEEviiiPKT0_S3_S3_S3_PS1_.uses_vcc, 1
	.set _ZN9rocsparseL48gtsv_nopivot_strided_batch_cr_pow2_stage2_kernelILj256EfEEviiiPKT0_S3_S3_S3_PS1_.uses_flat_scratch, 0
	.set _ZN9rocsparseL48gtsv_nopivot_strided_batch_cr_pow2_stage2_kernelILj256EfEEviiiPKT0_S3_S3_S3_PS1_.has_dyn_sized_stack, 0
	.set _ZN9rocsparseL48gtsv_nopivot_strided_batch_cr_pow2_stage2_kernelILj256EfEEviiiPKT0_S3_S3_S3_PS1_.has_recursion, 0
	.set _ZN9rocsparseL48gtsv_nopivot_strided_batch_cr_pow2_stage2_kernelILj256EfEEviiiPKT0_S3_S3_S3_PS1_.has_indirect_call, 0
	.section	.AMDGPU.csdata,"",@progbits
; Kernel info:
; codeLenInByte = 5968
; TotalNumSgprs: 22
; NumVgprs: 30
; ScratchSize: 0
; MemoryBound: 0
; FloatMode: 240
; IeeeMode: 1
; LDSByteSize: 10240 bytes/workgroup (compile time only)
; SGPRBlocks: 0
; VGPRBlocks: 1
; NumSGPRsForWavesPerEU: 22
; NumVGPRsForWavesPerEU: 30
; NamedBarCnt: 0
; Occupancy: 16
; WaveLimiterHint : 0
; COMPUTE_PGM_RSRC2:SCRATCH_EN: 0
; COMPUTE_PGM_RSRC2:USER_SGPR: 2
; COMPUTE_PGM_RSRC2:TRAP_HANDLER: 0
; COMPUTE_PGM_RSRC2:TGID_X_EN: 1
; COMPUTE_PGM_RSRC2:TGID_Y_EN: 1
; COMPUTE_PGM_RSRC2:TGID_Z_EN: 0
; COMPUTE_PGM_RSRC2:TIDIG_COMP_CNT: 0
	.section	.text._ZN9rocsparseL44gtsv_nopivot_strided_batch_pcr_stage1_kernelILj256EfEEviiiiPKT0_S3_S3_S3_PS1_S4_S4_S4_,"axG",@progbits,_ZN9rocsparseL44gtsv_nopivot_strided_batch_pcr_stage1_kernelILj256EfEEviiiiPKT0_S3_S3_S3_PS1_S4_S4_S4_,comdat
	.globl	_ZN9rocsparseL44gtsv_nopivot_strided_batch_pcr_stage1_kernelILj256EfEEviiiiPKT0_S3_S3_S3_PS1_S4_S4_S4_ ; -- Begin function _ZN9rocsparseL44gtsv_nopivot_strided_batch_pcr_stage1_kernelILj256EfEEviiiiPKT0_S3_S3_S3_PS1_S4_S4_S4_
	.p2align	8
	.type	_ZN9rocsparseL44gtsv_nopivot_strided_batch_pcr_stage1_kernelILj256EfEEviiiiPKT0_S3_S3_S3_PS1_S4_S4_S4_,@function
_ZN9rocsparseL44gtsv_nopivot_strided_batch_pcr_stage1_kernelILj256EfEEviiiiPKT0_S3_S3_S3_PS1_S4_S4_S4_: ; @_ZN9rocsparseL44gtsv_nopivot_strided_batch_pcr_stage1_kernelILj256EfEEviiiiPKT0_S3_S3_S3_PS1_S4_S4_S4_
; %bb.0:
	s_load_b64 s[2:3], s[0:1], 0x0
	s_bfe_u32 s4, ttmp6, 0x4000c
	s_and_b32 s5, ttmp6, 15
	s_add_co_i32 s4, s4, 1
	s_delay_alu instid0(SALU_CYCLE_1) | instskip(SKIP_4) | instid1(SALU_CYCLE_1)
	s_mul_i32 s6, ttmp9, s4
	s_getreg_b32 s4, hwreg(HW_REG_IB_STS2, 6, 4)
	s_add_co_i32 s5, s5, s6
	s_cmp_eq_u32 s4, 0
	s_cselect_b32 s5, ttmp9, s5
	v_lshl_or_b32 v0, s5, 8, v0
	s_mov_b32 s5, exec_lo
	s_wait_kmcnt 0x0
	s_delay_alu instid0(VALU_DEP_1)
	v_cmpx_gt_i32_e64 s3, v0
	s_cbranch_execz .LBB19_2
; %bb.1:
	s_clause 0x1
	s_load_b32 s5, s[0:1], 0xc
	s_load_b256 s[8:15], s[0:1], 0x10
	s_bfe_u32 s6, ttmp6, 0x40010
	s_bfe_u32 s7, ttmp6, 0x40004
	s_add_co_i32 s6, s6, 1
	v_subrev_nc_u32_e32 v1, s2, v0
	s_mul_i32 s6, ttmp7, s6
	s_delay_alu instid0(SALU_CYCLE_1) | instskip(SKIP_1) | instid1(VALU_DEP_1)
	s_add_co_i32 s7, s7, s6
	s_cmp_eq_u32 s4, 0
	v_max_i32_e32 v1, 0, v1
	s_cselect_b32 s16, ttmp7, s7
	s_add_co_i32 s6, s3, -1
	s_delay_alu instid0(SALU_CYCLE_1) | instskip(SKIP_2) | instid1(SALU_CYCLE_1)
	v_add_min_i32_e64 v6, v0, s2, s6
	s_wait_kmcnt 0x0
	s_mul_i32 s4, s5, s16
	s_ashr_i32 s5, s4, 31
	s_delay_alu instid0(SALU_CYCLE_1) | instskip(NEXT) | instid1(SALU_CYCLE_1)
	s_lshl_b64 s[4:5], s[4:5], 2
	s_add_nc_u64 s[6:7], s[8:9], s[4:5]
	s_add_nc_u64 s[8:9], s[10:11], s[4:5]
	;; [unrolled: 1-line block ×3, first 2 shown]
	global_load_b32 v7, v6, s[8:9] scale_offset
	s_clause 0x1
	global_load_b32 v8, v0, s[10:11] scale_offset
	global_load_b32 v9, v0, s[6:7] scale_offset
	;; [unrolled: 1-line block ×3, first 2 shown]
	s_add_nc_u64 s[4:5], s[14:15], s[4:5]
	s_clause 0x2
	global_load_b32 v3, v6, s[4:5] scale_offset
	global_load_b32 v11, v6, s[10:11] scale_offset
	;; [unrolled: 1-line block ×3, first 2 shown]
	s_clause 0x3
	global_load_b32 v4, v1, s[10:11] scale_offset
	global_load_b32 v2, v1, s[4:5] scale_offset
	;; [unrolled: 1-line block ×5, first 2 shown]
	s_wait_xcnt 0x0
	s_load_b256 s[4:11], s[0:1], 0x30
	s_wait_xcnt 0x0
	s_mul_i32 s0, s3, s16
	s_delay_alu instid0(SALU_CYCLE_1) | instskip(NEXT) | instid1(SALU_CYCLE_1)
	s_ashr_i32 s1, s0, 31
	s_lshl_b64 s[0:1], s[0:1], 2
	s_wait_loadcnt 0xa
	v_div_scale_f32 v1, null, v7, v7, v8
	s_wait_loadcnt 0x8
	v_div_scale_f32 v6, null, v10, v10, v9
	v_div_scale_f32 v19, vcc_lo, v8, v7, v8
	s_delay_alu instid0(VALU_DEP_3) | instskip(NEXT) | instid1(VALU_DEP_2)
	v_rcp_f32_e32 v15, v1
	v_rcp_f32_e32 v16, v6
	s_delay_alu instid0(TRANS32_DEP_2) | instskip(NEXT) | instid1(TRANS32_DEP_1)
	v_fma_f32 v17, -v1, v15, 1.0
	v_fma_f32 v18, -v6, v16, 1.0
	s_delay_alu instid0(VALU_DEP_2) | instskip(SKIP_1) | instid1(VALU_DEP_2)
	v_fmac_f32_e32 v15, v17, v15
	v_div_scale_f32 v17, s2, v9, v10, v9
	v_dual_fmac_f32 v16, v18, v16 :: v_dual_mul_f32 v18, v19, v15
	s_delay_alu instid0(VALU_DEP_1) | instskip(NEXT) | instid1(VALU_DEP_1)
	v_mul_f32_e32 v20, v17, v16
	v_dual_fma_f32 v21, -v1, v18, v19 :: v_dual_fma_f32 v22, -v6, v20, v17
	s_delay_alu instid0(VALU_DEP_1) | instskip(NEXT) | instid1(VALU_DEP_1)
	v_dual_fmac_f32 v18, v21, v15 :: v_dual_fmac_f32 v20, v22, v16
	v_dual_fma_f32 v1, -v1, v18, v19 :: v_dual_fma_f32 v6, -v6, v20, v17
	s_delay_alu instid0(VALU_DEP_1)
	v_div_fmas_f32 v1, v1, v15, v18
	s_mov_b32 vcc_lo, s2
	s_wait_kmcnt 0x0
	s_add_nc_u64 s[2:3], s[4:5], s[0:1]
	v_div_fmas_f32 v6, v6, v16, v20
	s_add_nc_u64 s[4:5], s[6:7], s[0:1]
	v_div_fixup_f32 v7, v1, v7, v8
	s_add_nc_u64 s[6:7], s[8:9], s[0:1]
	s_add_nc_u64 s[0:1], s[10:11], s[0:1]
	v_div_fixup_f32 v6, v6, v10, v9
	s_wait_loadcnt 0x4
	s_delay_alu instid0(VALU_DEP_1) | instskip(SKIP_3) | instid1(VALU_DEP_1)
	v_pk_mul_f32 v[4:5], v[6:7], v[4:5]
	s_wait_loadcnt 0x3
	v_pk_mul_f32 v[2:3], v[6:7], v[2:3]
	s_wait_loadcnt 0x1
	v_dual_sub_f32 v2, v12, v2 :: v_dual_sub_f32 v1, v13, v4
	v_mul_f32_e64 v4, v7, -v11
	s_delay_alu instid0(VALU_DEP_2)
	v_dual_sub_f32 v2, v2, v3 :: v_dual_sub_f32 v1, v1, v5
	s_wait_loadcnt 0x0
	v_mul_f32_e64 v3, v6, -v14
	s_clause 0x3
	global_store_b32 v0, v1, s[4:5] scale_offset
	global_store_b32 v0, v2, s[0:1] scale_offset
	global_store_b32 v0, v3, s[2:3] scale_offset
	global_store_b32 v0, v4, s[6:7] scale_offset
.LBB19_2:
	s_endpgm
	.section	.rodata,"a",@progbits
	.p2align	6, 0x0
	.amdhsa_kernel _ZN9rocsparseL44gtsv_nopivot_strided_batch_pcr_stage1_kernelILj256EfEEviiiiPKT0_S3_S3_S3_PS1_S4_S4_S4_
		.amdhsa_group_segment_fixed_size 0
		.amdhsa_private_segment_fixed_size 0
		.amdhsa_kernarg_size 80
		.amdhsa_user_sgpr_count 2
		.amdhsa_user_sgpr_dispatch_ptr 0
		.amdhsa_user_sgpr_queue_ptr 0
		.amdhsa_user_sgpr_kernarg_segment_ptr 1
		.amdhsa_user_sgpr_dispatch_id 0
		.amdhsa_user_sgpr_kernarg_preload_length 0
		.amdhsa_user_sgpr_kernarg_preload_offset 0
		.amdhsa_user_sgpr_private_segment_size 0
		.amdhsa_wavefront_size32 1
		.amdhsa_uses_dynamic_stack 0
		.amdhsa_enable_private_segment 0
		.amdhsa_system_sgpr_workgroup_id_x 1
		.amdhsa_system_sgpr_workgroup_id_y 1
		.amdhsa_system_sgpr_workgroup_id_z 0
		.amdhsa_system_sgpr_workgroup_info 0
		.amdhsa_system_vgpr_workitem_id 0
		.amdhsa_next_free_vgpr 23
		.amdhsa_next_free_sgpr 17
		.amdhsa_named_barrier_count 0
		.amdhsa_reserve_vcc 1
		.amdhsa_float_round_mode_32 0
		.amdhsa_float_round_mode_16_64 0
		.amdhsa_float_denorm_mode_32 3
		.amdhsa_float_denorm_mode_16_64 3
		.amdhsa_fp16_overflow 0
		.amdhsa_memory_ordered 1
		.amdhsa_forward_progress 1
		.amdhsa_inst_pref_size 6
		.amdhsa_round_robin_scheduling 0
		.amdhsa_exception_fp_ieee_invalid_op 0
		.amdhsa_exception_fp_denorm_src 0
		.amdhsa_exception_fp_ieee_div_zero 0
		.amdhsa_exception_fp_ieee_overflow 0
		.amdhsa_exception_fp_ieee_underflow 0
		.amdhsa_exception_fp_ieee_inexact 0
		.amdhsa_exception_int_div_zero 0
	.end_amdhsa_kernel
	.section	.text._ZN9rocsparseL44gtsv_nopivot_strided_batch_pcr_stage1_kernelILj256EfEEviiiiPKT0_S3_S3_S3_PS1_S4_S4_S4_,"axG",@progbits,_ZN9rocsparseL44gtsv_nopivot_strided_batch_pcr_stage1_kernelILj256EfEEviiiiPKT0_S3_S3_S3_PS1_S4_S4_S4_,comdat
.Lfunc_end19:
	.size	_ZN9rocsparseL44gtsv_nopivot_strided_batch_pcr_stage1_kernelILj256EfEEviiiiPKT0_S3_S3_S3_PS1_S4_S4_S4_, .Lfunc_end19-_ZN9rocsparseL44gtsv_nopivot_strided_batch_pcr_stage1_kernelILj256EfEEviiiiPKT0_S3_S3_S3_PS1_S4_S4_S4_
                                        ; -- End function
	.set _ZN9rocsparseL44gtsv_nopivot_strided_batch_pcr_stage1_kernelILj256EfEEviiiiPKT0_S3_S3_S3_PS1_S4_S4_S4_.num_vgpr, 23
	.set _ZN9rocsparseL44gtsv_nopivot_strided_batch_pcr_stage1_kernelILj256EfEEviiiiPKT0_S3_S3_S3_PS1_S4_S4_S4_.num_agpr, 0
	.set _ZN9rocsparseL44gtsv_nopivot_strided_batch_pcr_stage1_kernelILj256EfEEviiiiPKT0_S3_S3_S3_PS1_S4_S4_S4_.numbered_sgpr, 17
	.set _ZN9rocsparseL44gtsv_nopivot_strided_batch_pcr_stage1_kernelILj256EfEEviiiiPKT0_S3_S3_S3_PS1_S4_S4_S4_.num_named_barrier, 0
	.set _ZN9rocsparseL44gtsv_nopivot_strided_batch_pcr_stage1_kernelILj256EfEEviiiiPKT0_S3_S3_S3_PS1_S4_S4_S4_.private_seg_size, 0
	.set _ZN9rocsparseL44gtsv_nopivot_strided_batch_pcr_stage1_kernelILj256EfEEviiiiPKT0_S3_S3_S3_PS1_S4_S4_S4_.uses_vcc, 1
	.set _ZN9rocsparseL44gtsv_nopivot_strided_batch_pcr_stage1_kernelILj256EfEEviiiiPKT0_S3_S3_S3_PS1_S4_S4_S4_.uses_flat_scratch, 0
	.set _ZN9rocsparseL44gtsv_nopivot_strided_batch_pcr_stage1_kernelILj256EfEEviiiiPKT0_S3_S3_S3_PS1_S4_S4_S4_.has_dyn_sized_stack, 0
	.set _ZN9rocsparseL44gtsv_nopivot_strided_batch_pcr_stage1_kernelILj256EfEEviiiiPKT0_S3_S3_S3_PS1_S4_S4_S4_.has_recursion, 0
	.set _ZN9rocsparseL44gtsv_nopivot_strided_batch_pcr_stage1_kernelILj256EfEEviiiiPKT0_S3_S3_S3_PS1_S4_S4_S4_.has_indirect_call, 0
	.section	.AMDGPU.csdata,"",@progbits
; Kernel info:
; codeLenInByte = 716
; TotalNumSgprs: 19
; NumVgprs: 23
; ScratchSize: 0
; MemoryBound: 0
; FloatMode: 240
; IeeeMode: 1
; LDSByteSize: 0 bytes/workgroup (compile time only)
; SGPRBlocks: 0
; VGPRBlocks: 1
; NumSGPRsForWavesPerEU: 19
; NumVGPRsForWavesPerEU: 23
; NamedBarCnt: 0
; Occupancy: 16
; WaveLimiterHint : 0
; COMPUTE_PGM_RSRC2:SCRATCH_EN: 0
; COMPUTE_PGM_RSRC2:USER_SGPR: 2
; COMPUTE_PGM_RSRC2:TRAP_HANDLER: 0
; COMPUTE_PGM_RSRC2:TGID_X_EN: 1
; COMPUTE_PGM_RSRC2:TGID_Y_EN: 1
; COMPUTE_PGM_RSRC2:TGID_Z_EN: 0
; COMPUTE_PGM_RSRC2:TIDIG_COMP_CNT: 0
	.section	.text._ZN9rocsparseL44gtsv_nopivot_strided_batch_pcr_stage2_kernelILj512EfEEviiiPKT0_S3_S3_S3_PS1_,"axG",@progbits,_ZN9rocsparseL44gtsv_nopivot_strided_batch_pcr_stage2_kernelILj512EfEEviiiPKT0_S3_S3_S3_PS1_,comdat
	.globl	_ZN9rocsparseL44gtsv_nopivot_strided_batch_pcr_stage2_kernelILj512EfEEviiiPKT0_S3_S3_S3_PS1_ ; -- Begin function _ZN9rocsparseL44gtsv_nopivot_strided_batch_pcr_stage2_kernelILj512EfEEviiiPKT0_S3_S3_S3_PS1_
	.p2align	8
	.type	_ZN9rocsparseL44gtsv_nopivot_strided_batch_pcr_stage2_kernelILj512EfEEviiiPKT0_S3_S3_S3_PS1_,@function
_ZN9rocsparseL44gtsv_nopivot_strided_batch_pcr_stage2_kernelILj512EfEEviiiPKT0_S3_S3_S3_PS1_: ; @_ZN9rocsparseL44gtsv_nopivot_strided_batch_pcr_stage2_kernelILj512EfEEviiiPKT0_S3_S3_S3_PS1_
; %bb.0:
	s_clause 0x1
	s_load_b32 s2, s[0:1], 0x38
	s_load_b32 s16, s[0:1], 0x0
	s_bfe_u32 s4, ttmp6, 0x4000c
	s_bfe_u32 s5, ttmp6, 0x40010
	s_add_co_i32 s4, s4, 1
	s_add_co_i32 s5, s5, 1
	s_and_b32 s3, ttmp6, 15
	s_bfe_u32 s6, ttmp6, 0x40004
	s_mul_i32 s4, ttmp9, s4
	s_mul_i32 s5, ttmp7, s5
	s_getreg_b32 s7, hwreg(HW_REG_IB_STS2, 6, 4)
	s_add_co_i32 s3, s3, s4
	s_add_co_i32 s6, s6, s5
	s_cmp_eq_u32 s7, 0
	s_load_b256 s[8:15], s[0:1], 0x10
	s_cselect_b32 s3, ttmp9, s3
	s_cselect_b32 s4, ttmp7, s6
	v_sub_nc_u32_e64 v7, v0, 1 clamp
	s_wait_kmcnt 0x0
	v_mad_u32 v1, s2, v0, s3
	s_mul_i32 s5, s16, s4
	s_add_co_i32 s3, s16, s3
	v_lshlrev_b32_e32 v12, 2, v7
	s_add_co_i32 s3, s3, s5
	s_delay_alu instid0(SALU_CYCLE_1) | instskip(NEXT) | instid1(VALU_DEP_2)
	s_sub_co_i32 s3, s3, s2
	v_add_nc_u32_e32 v2, s5, v1
	v_cmp_gt_i32_e64 s2, s16, v1
	s_delay_alu instid0(VALU_DEP_1)
	v_cndmask_b32_e64 v2, s3, v2, s2
	s_clause 0x3
	global_load_b32 v3, v2, s[8:9] scale_offset
	global_load_b32 v4, v2, s[10:11] scale_offset
	;; [unrolled: 1-line block ×4, first 2 shown]
	s_wait_xcnt 0x0
	v_min_u32_e32 v2, 0x1fe, v0
	s_delay_alu instid0(VALU_DEP_1)
	v_dual_lshlrev_b32 v8, 2, v2 :: v_dual_lshlrev_b32 v2, 2, v0
	s_wait_loadcnt 0x2
	ds_store_2addr_stride64_b32 v2, v3, v4 offset1:8
	s_wait_loadcnt 0x0
	ds_store_2addr_stride64_b32 v2, v5, v6 offset0:16 offset1:32
	v_add_nc_u32_e32 v14, 4, v8
	s_wait_dscnt 0x0
	s_barrier_signal -1
	s_barrier_wait -1
	ds_load_2addr_stride64_b32 v[4:5], v2 offset1:8
	ds_load_2addr_stride64_b32 v[6:7], v12 offset1:8
	ds_load_2addr_stride64_b32 v[8:9], v2 offset0:16 offset1:32
	ds_load_2addr_stride64_b32 v[10:11], v14 offset1:8
	s_wait_dscnt 0x2
	v_div_scale_f32 v3, null, v7, v7, v4
	s_wait_dscnt 0x0
	v_div_scale_f32 v16, null, v11, v11, v8
	v_div_scale_f32 v19, vcc_lo, v4, v7, v4
	s_delay_alu instid0(VALU_DEP_3) | instskip(NEXT) | instid1(VALU_DEP_2)
	v_rcp_f32_e32 v17, v3
	v_rcp_f32_e32 v18, v16
	v_div_scale_f32 v20, s3, v8, v11, v8
	s_delay_alu instid0(TRANS32_DEP_2) | instskip(NEXT) | instid1(TRANS32_DEP_1)
	v_fma_f32 v13, -v3, v17, 1.0
	v_fma_f32 v15, -v16, v18, 1.0
	s_delay_alu instid0(VALU_DEP_1) | instskip(SKIP_2) | instid1(VALU_DEP_1)
	v_dual_fmac_f32 v17, v13, v17 :: v_dual_fmac_f32 v18, v15, v18
	ds_load_2addr_stride64_b32 v[12:13], v12 offset0:16 offset1:32
	v_dual_mul_f32 v21, v19, v17 :: v_dual_mul_f32 v22, v20, v18
	v_dual_fma_f32 v15, -v3, v21, v19 :: v_dual_fma_f32 v23, -v16, v22, v20
	s_delay_alu instid0(VALU_DEP_1) | instskip(NEXT) | instid1(VALU_DEP_2)
	v_fmac_f32_e32 v22, v23, v18
	v_fmac_f32_e32 v21, v15, v17
	ds_load_2addr_stride64_b32 v[14:15], v14 offset0:16 offset1:32
	v_min_u32_e32 v23, 0x1fd, v0
	s_wait_dscnt 0x0
	v_dual_fma_f32 v16, -v16, v22, v20 :: v_dual_fma_f32 v3, -v3, v21, v19
	v_sub_nc_u32_e64 v19, v0, 2 clamp
	s_barrier_signal -1
	s_barrier_wait -1
	s_delay_alu instid0(VALU_DEP_2)
	v_div_fmas_f32 v3, v3, v17, v21
	s_mov_b32 vcc_lo, s3
	v_lshlrev_b32_e32 v17, 2, v23
	v_div_fmas_f32 v16, v16, v18, v22
	v_lshlrev_b32_e32 v18, 2, v19
	v_div_fixup_f32 v3, v3, v7, v4
	s_delay_alu instid0(VALU_DEP_4) | instskip(NEXT) | instid1(VALU_DEP_4)
	v_add_nc_u32_e32 v17, 8, v17
	v_div_fixup_f32 v4, v16, v11, v8
	s_delay_alu instid0(VALU_DEP_3) | instskip(SKIP_1) | instid1(VALU_DEP_3)
	v_fma_f32 v5, -v3, v12, v5
	v_dual_fma_f32 v7, -v3, v13, v9 :: v_dual_mul_f32 v3, v3, -v6
	v_mul_f32_e64 v6, v4, -v14
	s_delay_alu instid0(VALU_DEP_2)
	v_dual_fma_f32 v5, -v4, v10, v5 :: v_dual_fma_f32 v4, -v4, v15, v7
	ds_store_2addr_stride64_b32 v2, v3, v5 offset1:8
	ds_store_2addr_stride64_b32 v2, v6, v4 offset0:16 offset1:32
	s_wait_dscnt 0x0
	s_barrier_signal -1
	s_barrier_wait -1
	ds_load_2addr_stride64_b32 v[4:5], v2 offset1:8
	ds_load_2addr_stride64_b32 v[6:7], v18 offset1:8
	ds_load_2addr_stride64_b32 v[8:9], v2 offset0:16 offset1:32
	ds_load_2addr_stride64_b32 v[10:11], v17 offset1:8
	s_wait_dscnt 0x2
	v_div_scale_f32 v3, null, v7, v7, v4
	s_wait_dscnt 0x0
	v_div_scale_f32 v16, null, v11, v11, v8
	v_div_scale_f32 v21, vcc_lo, v4, v7, v4
	s_delay_alu instid0(VALU_DEP_3) | instskip(NEXT) | instid1(VALU_DEP_2)
	v_rcp_f32_e32 v19, v3
	v_rcp_f32_e32 v20, v16
	v_div_scale_f32 v22, s3, v8, v11, v8
	s_delay_alu instid0(TRANS32_DEP_2) | instskip(NEXT) | instid1(TRANS32_DEP_1)
	v_fma_f32 v12, -v3, v19, 1.0
	v_fma_f32 v13, -v16, v20, 1.0
	s_delay_alu instid0(VALU_DEP_1) | instskip(SKIP_3) | instid1(VALU_DEP_1)
	v_dual_fmac_f32 v20, v13, v20 :: v_dual_fmac_f32 v19, v12, v19
	ds_load_2addr_stride64_b32 v[12:13], v18 offset0:16 offset1:32
	v_min_u32_e32 v18, 0x1fb, v0
	v_dual_mul_f32 v24, v22, v20 :: v_dual_mul_f32 v23, v21, v19
	v_dual_lshlrev_b32 v18, 2, v18 :: v_dual_fma_f32 v15, -v16, v24, v22
	s_delay_alu instid0(VALU_DEP_1) | instskip(NEXT) | instid1(VALU_DEP_1)
	v_dual_fma_f32 v14, -v3, v23, v21 :: v_dual_add_nc_u32 v18, 16, v18
	v_dual_fmac_f32 v24, v15, v20 :: v_dual_fmac_f32 v23, v14, v19
	ds_load_2addr_stride64_b32 v[14:15], v17 offset0:16 offset1:32
	v_sub_nc_u32_e64 v17, v0, 4 clamp
	s_wait_dscnt 0x0
	v_dual_fma_f32 v16, -v16, v24, v22 :: v_dual_fma_f32 v3, -v3, v23, v21
	s_barrier_signal -1
	s_delay_alu instid0(VALU_DEP_2) | instskip(SKIP_1) | instid1(VALU_DEP_2)
	v_lshlrev_b32_e32 v17, 2, v17
	s_barrier_wait -1
	v_div_fmas_f32 v3, v3, v19, v23
	s_mov_b32 vcc_lo, s3
	v_div_fmas_f32 v16, v16, v20, v24
	s_delay_alu instid0(VALU_DEP_2) | instskip(NEXT) | instid1(VALU_DEP_2)
	v_div_fixup_f32 v3, v3, v7, v4
	v_div_fixup_f32 v4, v16, v11, v8
	s_delay_alu instid0(VALU_DEP_2) | instskip(SKIP_1) | instid1(VALU_DEP_3)
	v_fma_f32 v5, -v3, v12, v5
	v_dual_fma_f32 v7, -v3, v13, v9 :: v_dual_mul_f32 v3, v3, -v6
	v_mul_f32_e64 v6, v4, -v14
	s_delay_alu instid0(VALU_DEP_2)
	v_dual_fma_f32 v5, -v4, v10, v5 :: v_dual_fma_f32 v4, -v4, v15, v7
	ds_store_2addr_stride64_b32 v2, v3, v5 offset1:8
	ds_store_2addr_stride64_b32 v2, v6, v4 offset0:16 offset1:32
	s_wait_dscnt 0x0
	s_barrier_signal -1
	s_barrier_wait -1
	ds_load_2addr_stride64_b32 v[4:5], v2 offset1:8
	ds_load_2addr_stride64_b32 v[6:7], v17 offset1:8
	ds_load_2addr_stride64_b32 v[8:9], v2 offset0:16 offset1:32
	ds_load_2addr_stride64_b32 v[10:11], v18 offset1:8
	s_wait_dscnt 0x2
	v_div_scale_f32 v3, null, v7, v7, v4
	s_wait_dscnt 0x0
	v_div_scale_f32 v16, null, v11, v11, v8
	v_div_scale_f32 v21, vcc_lo, v4, v7, v4
	s_delay_alu instid0(VALU_DEP_3) | instskip(NEXT) | instid1(VALU_DEP_2)
	v_rcp_f32_e32 v19, v3
	v_rcp_f32_e32 v20, v16
	v_div_scale_f32 v22, s3, v8, v11, v8
	s_delay_alu instid0(TRANS32_DEP_2) | instskip(NEXT) | instid1(TRANS32_DEP_1)
	v_fma_f32 v12, -v3, v19, 1.0
	v_fma_f32 v13, -v16, v20, 1.0
	s_delay_alu instid0(VALU_DEP_1) | instskip(SKIP_3) | instid1(VALU_DEP_1)
	v_dual_fmac_f32 v19, v12, v19 :: v_dual_fmac_f32 v20, v13, v20
	ds_load_2addr_stride64_b32 v[12:13], v17 offset0:16 offset1:32
	v_min_u32_e32 v17, 0x1f7, v0
	v_dual_mul_f32 v23, v21, v19 :: v_dual_mul_f32 v24, v22, v20
	v_dual_fma_f32 v14, -v3, v23, v21 :: v_dual_fma_f32 v15, -v16, v24, v22
	s_delay_alu instid0(VALU_DEP_1)
	v_dual_fmac_f32 v23, v14, v19 :: v_dual_fmac_f32 v24, v15, v20
	ds_load_2addr_stride64_b32 v[14:15], v18 offset0:16 offset1:32
	v_sub_nc_u32_e64 v18, v0, 8 clamp
	v_dual_lshlrev_b32 v17, 2, v17 :: v_dual_fma_f32 v3, -v3, v23, v21
	v_fma_f32 v16, -v16, v24, v22
	s_wait_dscnt 0x0
	s_delay_alu instid0(VALU_DEP_3)
	v_lshlrev_b32_e32 v18, 2, v18
	s_barrier_signal -1
	v_div_fmas_f32 v3, v3, v19, v23
	s_mov_b32 vcc_lo, s3
	s_barrier_wait -1
	v_div_fmas_f32 v16, v16, v20, v24
	s_delay_alu instid0(VALU_DEP_2) | instskip(SKIP_1) | instid1(VALU_DEP_3)
	v_div_fixup_f32 v3, v3, v7, v4
	v_add_nc_u32_e32 v17, 32, v17
	v_div_fixup_f32 v4, v16, v11, v8
	s_delay_alu instid0(VALU_DEP_3) | instskip(SKIP_1) | instid1(VALU_DEP_3)
	v_fma_f32 v5, -v3, v12, v5
	v_dual_fma_f32 v7, -v3, v13, v9 :: v_dual_mul_f32 v3, v3, -v6
	v_mul_f32_e64 v6, v4, -v14
	s_delay_alu instid0(VALU_DEP_2)
	v_dual_fma_f32 v5, -v4, v10, v5 :: v_dual_fma_f32 v4, -v4, v15, v7
	ds_store_2addr_stride64_b32 v2, v3, v5 offset1:8
	ds_store_2addr_stride64_b32 v2, v6, v4 offset0:16 offset1:32
	s_wait_dscnt 0x0
	s_barrier_signal -1
	s_barrier_wait -1
	ds_load_2addr_stride64_b32 v[4:5], v2 offset1:8
	ds_load_2addr_stride64_b32 v[6:7], v18 offset1:8
	ds_load_2addr_stride64_b32 v[8:9], v2 offset0:16 offset1:32
	ds_load_2addr_stride64_b32 v[10:11], v17 offset1:8
	s_wait_dscnt 0x2
	v_div_scale_f32 v3, null, v7, v7, v4
	s_wait_dscnt 0x0
	v_div_scale_f32 v16, null, v11, v11, v8
	v_div_scale_f32 v21, vcc_lo, v4, v7, v4
	s_delay_alu instid0(VALU_DEP_3) | instskip(NEXT) | instid1(VALU_DEP_2)
	v_rcp_f32_e32 v19, v3
	v_rcp_f32_e32 v20, v16
	v_div_scale_f32 v22, s3, v8, v11, v8
	s_delay_alu instid0(TRANS32_DEP_2) | instskip(NEXT) | instid1(TRANS32_DEP_1)
	v_fma_f32 v12, -v3, v19, 1.0
	v_fma_f32 v13, -v16, v20, 1.0
	s_delay_alu instid0(VALU_DEP_1) | instskip(SKIP_3) | instid1(VALU_DEP_1)
	v_dual_fmac_f32 v20, v13, v20 :: v_dual_fmac_f32 v19, v12, v19
	ds_load_2addr_stride64_b32 v[12:13], v18 offset0:16 offset1:32
	v_min_u32_e32 v18, 0x1ef, v0
	v_dual_mul_f32 v24, v22, v20 :: v_dual_mul_f32 v23, v21, v19
	v_dual_lshlrev_b32 v18, 2, v18 :: v_dual_fma_f32 v15, -v16, v24, v22
	s_delay_alu instid0(VALU_DEP_1) | instskip(NEXT) | instid1(VALU_DEP_1)
	v_dual_fma_f32 v14, -v3, v23, v21 :: v_dual_add_nc_u32 v18, 64, v18
	v_dual_fmac_f32 v24, v15, v20 :: v_dual_fmac_f32 v23, v14, v19
	ds_load_2addr_stride64_b32 v[14:15], v17 offset0:16 offset1:32
	v_sub_nc_u32_e64 v17, v0, 16 clamp
	s_wait_dscnt 0x0
	v_dual_fma_f32 v16, -v16, v24, v22 :: v_dual_fma_f32 v3, -v3, v23, v21
	s_barrier_signal -1
	s_delay_alu instid0(VALU_DEP_2) | instskip(SKIP_1) | instid1(VALU_DEP_2)
	v_lshlrev_b32_e32 v17, 2, v17
	s_barrier_wait -1
	v_div_fmas_f32 v3, v3, v19, v23
	s_mov_b32 vcc_lo, s3
	v_div_fmas_f32 v16, v16, v20, v24
	s_delay_alu instid0(VALU_DEP_2) | instskip(NEXT) | instid1(VALU_DEP_2)
	v_div_fixup_f32 v3, v3, v7, v4
	v_div_fixup_f32 v4, v16, v11, v8
	s_delay_alu instid0(VALU_DEP_2) | instskip(SKIP_1) | instid1(VALU_DEP_3)
	v_fma_f32 v5, -v3, v12, v5
	v_dual_fma_f32 v7, -v3, v13, v9 :: v_dual_mul_f32 v3, v3, -v6
	v_mul_f32_e64 v6, v4, -v14
	s_delay_alu instid0(VALU_DEP_2)
	v_dual_fma_f32 v5, -v4, v10, v5 :: v_dual_fma_f32 v4, -v4, v15, v7
	ds_store_2addr_stride64_b32 v2, v3, v5 offset1:8
	ds_store_2addr_stride64_b32 v2, v6, v4 offset0:16 offset1:32
	s_wait_dscnt 0x0
	s_barrier_signal -1
	s_barrier_wait -1
	ds_load_2addr_stride64_b32 v[4:5], v2 offset1:8
	ds_load_2addr_stride64_b32 v[6:7], v17 offset1:8
	ds_load_2addr_stride64_b32 v[8:9], v2 offset0:16 offset1:32
	ds_load_2addr_stride64_b32 v[10:11], v18 offset1:8
	s_wait_dscnt 0x2
	v_div_scale_f32 v3, null, v7, v7, v4
	s_wait_dscnt 0x0
	v_div_scale_f32 v16, null, v11, v11, v8
	v_div_scale_f32 v21, vcc_lo, v4, v7, v4
	s_delay_alu instid0(VALU_DEP_3) | instskip(NEXT) | instid1(VALU_DEP_2)
	v_rcp_f32_e32 v19, v3
	v_rcp_f32_e32 v20, v16
	v_div_scale_f32 v22, s3, v8, v11, v8
	s_delay_alu instid0(TRANS32_DEP_2) | instskip(NEXT) | instid1(TRANS32_DEP_1)
	v_fma_f32 v12, -v3, v19, 1.0
	v_fma_f32 v13, -v16, v20, 1.0
	s_delay_alu instid0(VALU_DEP_1) | instskip(SKIP_3) | instid1(VALU_DEP_1)
	v_dual_fmac_f32 v19, v12, v19 :: v_dual_fmac_f32 v20, v13, v20
	ds_load_2addr_stride64_b32 v[12:13], v17 offset0:16 offset1:32
	v_min_u32_e32 v17, 0x1df, v0
	v_dual_mul_f32 v23, v21, v19 :: v_dual_mul_f32 v24, v22, v20
	v_dual_fma_f32 v14, -v3, v23, v21 :: v_dual_fma_f32 v15, -v16, v24, v22
	s_delay_alu instid0(VALU_DEP_1)
	v_dual_fmac_f32 v23, v14, v19 :: v_dual_fmac_f32 v24, v15, v20
	ds_load_2addr_stride64_b32 v[14:15], v18 offset0:16 offset1:32
	v_sub_nc_u32_e64 v18, v0, 32 clamp
	v_dual_lshlrev_b32 v17, 2, v17 :: v_dual_fma_f32 v3, -v3, v23, v21
	v_fma_f32 v16, -v16, v24, v22
	s_wait_dscnt 0x0
	s_delay_alu instid0(VALU_DEP_3) | instskip(NEXT) | instid1(VALU_DEP_3)
	v_lshlrev_b32_e32 v18, 2, v18
	v_add_nc_u32_e32 v17, 0x80, v17
	v_div_fmas_f32 v3, v3, v19, v23
	s_mov_b32 vcc_lo, s3
	s_barrier_signal -1
	v_div_fmas_f32 v16, v16, v20, v24
	s_barrier_wait -1
	v_div_fixup_f32 v3, v3, v7, v4
	s_delay_alu instid0(VALU_DEP_2) | instskip(NEXT) | instid1(VALU_DEP_2)
	v_div_fixup_f32 v4, v16, v11, v8
	v_fma_f32 v5, -v3, v12, v5
	v_dual_fma_f32 v7, -v3, v13, v9 :: v_dual_mul_f32 v3, v3, -v6
	s_delay_alu instid0(VALU_DEP_3) | instskip(NEXT) | instid1(VALU_DEP_2)
	v_mul_f32_e64 v6, v4, -v14
	v_dual_fma_f32 v5, -v4, v10, v5 :: v_dual_fma_f32 v4, -v4, v15, v7
	ds_store_2addr_stride64_b32 v2, v3, v5 offset1:8
	ds_store_2addr_stride64_b32 v2, v6, v4 offset0:16 offset1:32
	s_wait_dscnt 0x0
	s_barrier_signal -1
	s_barrier_wait -1
	ds_load_2addr_stride64_b32 v[4:5], v2 offset1:8
	ds_load_2addr_stride64_b32 v[6:7], v18 offset1:8
	ds_load_2addr_stride64_b32 v[8:9], v2 offset0:16 offset1:32
	ds_load_2addr_stride64_b32 v[10:11], v17 offset1:8
	s_wait_dscnt 0x2
	v_div_scale_f32 v3, null, v7, v7, v4
	s_wait_dscnt 0x0
	v_div_scale_f32 v16, null, v11, v11, v8
	v_div_scale_f32 v21, vcc_lo, v4, v7, v4
	s_delay_alu instid0(VALU_DEP_3) | instskip(NEXT) | instid1(VALU_DEP_2)
	v_rcp_f32_e32 v19, v3
	v_rcp_f32_e32 v20, v16
	v_div_scale_f32 v22, s3, v8, v11, v8
	s_delay_alu instid0(TRANS32_DEP_2) | instskip(NEXT) | instid1(TRANS32_DEP_1)
	v_fma_f32 v12, -v3, v19, 1.0
	v_fma_f32 v13, -v16, v20, 1.0
	s_delay_alu instid0(VALU_DEP_1) | instskip(SKIP_3) | instid1(VALU_DEP_1)
	v_dual_fmac_f32 v20, v13, v20 :: v_dual_fmac_f32 v19, v12, v19
	ds_load_2addr_stride64_b32 v[12:13], v18 offset0:16 offset1:32
	v_sub_nc_u32_e64 v18, v0, 64 clamp
	v_dual_mul_f32 v24, v22, v20 :: v_dual_mul_f32 v23, v21, v19
	v_dual_lshlrev_b32 v18, 2, v18 :: v_dual_fma_f32 v15, -v16, v24, v22
	s_delay_alu instid0(VALU_DEP_2) | instskip(NEXT) | instid1(VALU_DEP_1)
	v_fma_f32 v14, -v3, v23, v21
	v_dual_fmac_f32 v24, v15, v20 :: v_dual_fmac_f32 v23, v14, v19
	ds_load_2addr_stride64_b32 v[14:15], v17 offset0:16 offset1:32
	v_min_u32_e32 v17, 0x1bf, v0
	s_wait_dscnt 0x0
	v_dual_fma_f32 v16, -v16, v24, v22 :: v_dual_fma_f32 v3, -v3, v23, v21
	s_barrier_signal -1
	s_barrier_wait -1
	s_delay_alu instid0(VALU_DEP_1) | instskip(SKIP_2) | instid1(VALU_DEP_2)
	v_div_fmas_f32 v3, v3, v19, v23
	s_mov_b32 vcc_lo, s3
	v_div_fmas_f32 v16, v16, v20, v24
	v_div_fixup_f32 v3, v3, v7, v4
	v_lshlrev_b32_e32 v17, 2, v17
	s_delay_alu instid0(VALU_DEP_3) | instskip(NEXT) | instid1(VALU_DEP_3)
	v_div_fixup_f32 v4, v16, v11, v8
	v_fma_f32 v5, -v3, v12, v5
	v_dual_fma_f32 v7, -v3, v13, v9 :: v_dual_mul_f32 v3, v3, -v6
	s_delay_alu instid0(VALU_DEP_3) | instskip(NEXT) | instid1(VALU_DEP_2)
	v_mul_f32_e64 v6, v4, -v14
	v_dual_fma_f32 v5, -v4, v10, v5 :: v_dual_fma_f32 v4, -v4, v15, v7
	ds_store_2addr_stride64_b32 v2, v3, v5 offset1:8
	ds_store_2addr_stride64_b32 v2, v6, v4 offset0:16 offset1:32
	s_wait_dscnt 0x0
	s_barrier_signal -1
	s_barrier_wait -1
	ds_load_2addr_stride64_b32 v[4:5], v2 offset1:8
	ds_load_2addr_stride64_b32 v[6:7], v18 offset1:8
	ds_load_2addr_stride64_b32 v[8:9], v2 offset0:16 offset1:32
	ds_load_2addr_stride64_b32 v[10:11], v17 offset0:1 offset1:9
	s_wait_dscnt 0x2
	v_div_scale_f32 v3, null, v7, v7, v4
	s_wait_dscnt 0x0
	v_div_scale_f32 v16, null, v11, v11, v8
	v_div_scale_f32 v21, vcc_lo, v4, v7, v4
	s_delay_alu instid0(VALU_DEP_3) | instskip(NEXT) | instid1(VALU_DEP_2)
	v_rcp_f32_e32 v19, v3
	v_rcp_f32_e32 v20, v16
	v_div_scale_f32 v22, s3, v8, v11, v8
	s_delay_alu instid0(TRANS32_DEP_2) | instskip(NEXT) | instid1(TRANS32_DEP_1)
	v_fma_f32 v12, -v3, v19, 1.0
	v_fma_f32 v13, -v16, v20, 1.0
	s_delay_alu instid0(VALU_DEP_1) | instskip(SKIP_3) | instid1(VALU_DEP_1)
	v_dual_fmac_f32 v20, v13, v20 :: v_dual_fmac_f32 v19, v12, v19
	ds_load_2addr_stride64_b32 v[12:13], v18 offset0:16 offset1:32
	v_subrev_nc_u32_e64 v18, 0x80, v0 clamp
	v_dual_mul_f32 v24, v22, v20 :: v_dual_mul_f32 v23, v21, v19
	v_dual_lshlrev_b32 v18, 2, v18 :: v_dual_fma_f32 v15, -v16, v24, v22
	s_delay_alu instid0(VALU_DEP_2) | instskip(NEXT) | instid1(VALU_DEP_1)
	v_fma_f32 v14, -v3, v23, v21
	v_dual_fmac_f32 v24, v15, v20 :: v_dual_fmac_f32 v23, v14, v19
	ds_load_2addr_stride64_b32 v[14:15], v17 offset0:17 offset1:33
	v_min_u32_e32 v17, 0x17f, v0
	s_wait_dscnt 0x0
	v_dual_fma_f32 v16, -v16, v24, v22 :: v_dual_fma_f32 v3, -v3, v23, v21
	s_barrier_signal -1
	s_barrier_wait -1
	s_delay_alu instid0(VALU_DEP_1) | instskip(SKIP_2) | instid1(VALU_DEP_2)
	v_div_fmas_f32 v3, v3, v19, v23
	s_mov_b32 vcc_lo, s3
	v_div_fmas_f32 v16, v16, v20, v24
	v_div_fixup_f32 v3, v3, v7, v4
	v_lshlrev_b32_e32 v17, 2, v17
	s_delay_alu instid0(VALU_DEP_3) | instskip(NEXT) | instid1(VALU_DEP_3)
	v_div_fixup_f32 v4, v16, v11, v8
	v_fma_f32 v5, -v3, v12, v5
	v_dual_fma_f32 v7, -v3, v13, v9 :: v_dual_mul_f32 v3, v3, -v6
	s_delay_alu instid0(VALU_DEP_3) | instskip(NEXT) | instid1(VALU_DEP_2)
	v_mul_f32_e64 v6, v4, -v14
	v_dual_fma_f32 v5, -v4, v10, v5 :: v_dual_fma_f32 v4, -v4, v15, v7
	ds_store_2addr_stride64_b32 v2, v3, v5 offset1:8
	ds_store_2addr_stride64_b32 v2, v6, v4 offset0:16 offset1:32
	s_wait_dscnt 0x0
	s_barrier_signal -1
	s_barrier_wait -1
	ds_load_2addr_stride64_b32 v[4:5], v2 offset1:8
	ds_load_2addr_stride64_b32 v[6:7], v18 offset1:8
	ds_load_2addr_stride64_b32 v[8:9], v2 offset0:16 offset1:32
	ds_load_2addr_stride64_b32 v[10:11], v17 offset0:2 offset1:10
	s_wait_dscnt 0x2
	v_div_scale_f32 v3, null, v7, v7, v4
	s_wait_dscnt 0x0
	v_div_scale_f32 v16, null, v11, v11, v8
	v_div_scale_f32 v21, vcc_lo, v4, v7, v4
	s_delay_alu instid0(VALU_DEP_3) | instskip(NEXT) | instid1(VALU_DEP_2)
	v_rcp_f32_e32 v19, v3
	v_rcp_f32_e32 v20, v16
	v_div_scale_f32 v22, s3, v8, v11, v8
	s_delay_alu instid0(TRANS32_DEP_2) | instskip(NEXT) | instid1(TRANS32_DEP_1)
	v_fma_f32 v12, -v3, v19, 1.0
	v_fma_f32 v13, -v16, v20, 1.0
	s_delay_alu instid0(VALU_DEP_1) | instskip(SKIP_2) | instid1(VALU_DEP_1)
	v_dual_fmac_f32 v20, v13, v20 :: v_dual_fmac_f32 v19, v12, v19
	ds_load_2addr_stride64_b32 v[12:13], v18 offset0:16 offset1:32
	v_dual_mul_f32 v24, v22, v20 :: v_dual_mul_f32 v23, v21, v19
	v_dual_fma_f32 v15, -v16, v24, v22 :: v_dual_fma_f32 v14, -v3, v23, v21
	s_delay_alu instid0(VALU_DEP_1)
	v_dual_fmac_f32 v24, v15, v20 :: v_dual_fmac_f32 v23, v14, v19
	ds_load_2addr_stride64_b32 v[14:15], v17 offset0:18 offset1:34
	s_wait_dscnt 0x0
	s_barrier_signal -1
	s_barrier_wait -1
	v_fma_f32 v3, -v3, v23, v21
	s_delay_alu instid0(VALU_DEP_1) | instskip(SKIP_1) | instid1(VALU_DEP_1)
	v_div_fmas_f32 v3, v3, v19, v23
	s_mov_b32 vcc_lo, s3
	v_div_fixup_f32 v3, v3, v7, v4
	v_fma_f32 v16, -v16, v24, v22
	s_delay_alu instid0(VALU_DEP_2) | instskip(SKIP_1) | instid1(VALU_DEP_3)
	v_fma_f32 v4, -v3, v12, v5
	v_fma_f32 v5, -v3, v13, v9
	v_div_fmas_f32 v16, v16, v20, v24
	v_cmp_gt_u32_e32 vcc_lo, 0x100, v0
	v_mul_f32_e64 v3, v3, -v6
	s_delay_alu instid0(VALU_DEP_3) | instskip(NEXT) | instid1(VALU_DEP_1)
	v_div_fixup_f32 v0, v16, v11, v8
	v_fma_f32 v4, -v0, v10, v4
	v_dual_mul_f32 v6, v0, -v14 :: v_dual_fma_f32 v0, -v0, v15, v5
	ds_store_2addr_stride64_b32 v2, v3, v4 offset1:8
	ds_store_2addr_stride64_b32 v2, v6, v0 offset0:16 offset1:32
	s_wait_dscnt 0x0
	s_barrier_signal -1
	s_barrier_wait -1
	s_and_saveexec_b32 s3, vcc_lo
	s_cbranch_execz .LBB20_2
; %bb.1:
	v_or_b32_e32 v0, 0x1000, v2
	v_or_b32_e32 v3, 0x800, v2
	;; [unrolled: 1-line block ×3, first 2 shown]
	ds_load_b32 v0, v0
	ds_load_b32 v8, v2 offset:1024
	ds_load_2addr_stride64_b32 v[4:5], v3 offset1:4
	s_wait_dscnt 0x1
	v_mul_f32_e32 v3, v0, v8
	s_wait_dscnt 0x0
	s_delay_alu instid0(VALU_DEP_1) | instskip(NEXT) | instid1(VALU_DEP_1)
	v_fma_f32 v3, v5, v4, -v3
	v_div_scale_f32 v9, null, v3, v3, 1.0
	v_div_scale_f32 v11, vcc_lo, 1.0, v3, 1.0
	s_delay_alu instid0(VALU_DEP_2) | instskip(SKIP_1) | instid1(TRANS32_DEP_1)
	v_rcp_f32_e32 v10, v9
	v_nop
	v_fma_f32 v6, -v9, v10, 1.0
	s_delay_alu instid0(VALU_DEP_1) | instskip(SKIP_2) | instid1(VALU_DEP_1)
	v_fmac_f32_e32 v10, v6, v10
	ds_load_2addr_stride64_b32 v[6:7], v7 offset1:4
	v_mul_f32_e32 v12, v11, v10
	v_fma_f32 v13, -v9, v12, v11
	s_wait_dscnt 0x0
	s_delay_alu instid0(VALU_DEP_1) | instskip(NEXT) | instid1(VALU_DEP_1)
	v_dual_fmac_f32 v12, v13, v10 :: v_dual_mul_f32 v0, v0, v7
	v_dual_fma_f32 v9, -v9, v12, v11 :: v_dual_mul_f32 v8, v8, v6
	s_delay_alu instid0(VALU_DEP_2) | instskip(NEXT) | instid1(VALU_DEP_2)
	v_fma_f32 v0, v5, v6, -v0
	v_div_fmas_f32 v9, v9, v10, v12
	s_delay_alu instid0(VALU_DEP_1) | instskip(NEXT) | instid1(VALU_DEP_1)
	v_div_fixup_f32 v3, v9, v3, 1.0
	v_dual_fma_f32 v4, v4, v7, -v8 :: v_dual_mul_f32 v0, v3, v0
	s_delay_alu instid0(VALU_DEP_1)
	v_mul_f32_e32 v3, v3, v4
	ds_store_2addr_stride64_b32 v2, v0, v3 offset0:24 offset1:28
.LBB20_2:
	s_or_b32 exec_lo, exec_lo, s3
	s_wait_dscnt 0x0
	s_barrier_signal -1
	s_barrier_wait -1
	s_and_saveexec_b32 s3, s2
	s_cbranch_execz .LBB20_4
; %bb.3:
	s_clause 0x1
	s_load_b32 s5, s[0:1], 0x8
	s_load_b64 s[2:3], s[0:1], 0x30
	ds_load_b32 v0, v2 offset:6144
	s_wait_kmcnt 0x0
	v_mad_u32 v1, s5, s4, v1
	s_wait_dscnt 0x0
	global_store_b32 v1, v0, s[2:3] scale_offset
.LBB20_4:
	s_endpgm
	.section	.rodata,"a",@progbits
	.p2align	6, 0x0
	.amdhsa_kernel _ZN9rocsparseL44gtsv_nopivot_strided_batch_pcr_stage2_kernelILj512EfEEviiiPKT0_S3_S3_S3_PS1_
		.amdhsa_group_segment_fixed_size 10240
		.amdhsa_private_segment_fixed_size 0
		.amdhsa_kernarg_size 312
		.amdhsa_user_sgpr_count 2
		.amdhsa_user_sgpr_dispatch_ptr 0
		.amdhsa_user_sgpr_queue_ptr 0
		.amdhsa_user_sgpr_kernarg_segment_ptr 1
		.amdhsa_user_sgpr_dispatch_id 0
		.amdhsa_user_sgpr_kernarg_preload_length 0
		.amdhsa_user_sgpr_kernarg_preload_offset 0
		.amdhsa_user_sgpr_private_segment_size 0
		.amdhsa_wavefront_size32 1
		.amdhsa_uses_dynamic_stack 0
		.amdhsa_enable_private_segment 0
		.amdhsa_system_sgpr_workgroup_id_x 1
		.amdhsa_system_sgpr_workgroup_id_y 1
		.amdhsa_system_sgpr_workgroup_id_z 0
		.amdhsa_system_sgpr_workgroup_info 0
		.amdhsa_system_vgpr_workitem_id 0
		.amdhsa_next_free_vgpr 25
		.amdhsa_next_free_sgpr 17
		.amdhsa_named_barrier_count 0
		.amdhsa_reserve_vcc 1
		.amdhsa_float_round_mode_32 0
		.amdhsa_float_round_mode_16_64 0
		.amdhsa_float_denorm_mode_32 3
		.amdhsa_float_denorm_mode_16_64 3
		.amdhsa_fp16_overflow 0
		.amdhsa_memory_ordered 1
		.amdhsa_forward_progress 1
		.amdhsa_inst_pref_size 26
		.amdhsa_round_robin_scheduling 0
		.amdhsa_exception_fp_ieee_invalid_op 0
		.amdhsa_exception_fp_denorm_src 0
		.amdhsa_exception_fp_ieee_div_zero 0
		.amdhsa_exception_fp_ieee_overflow 0
		.amdhsa_exception_fp_ieee_underflow 0
		.amdhsa_exception_fp_ieee_inexact 0
		.amdhsa_exception_int_div_zero 0
	.end_amdhsa_kernel
	.section	.text._ZN9rocsparseL44gtsv_nopivot_strided_batch_pcr_stage2_kernelILj512EfEEviiiPKT0_S3_S3_S3_PS1_,"axG",@progbits,_ZN9rocsparseL44gtsv_nopivot_strided_batch_pcr_stage2_kernelILj512EfEEviiiPKT0_S3_S3_S3_PS1_,comdat
.Lfunc_end20:
	.size	_ZN9rocsparseL44gtsv_nopivot_strided_batch_pcr_stage2_kernelILj512EfEEviiiPKT0_S3_S3_S3_PS1_, .Lfunc_end20-_ZN9rocsparseL44gtsv_nopivot_strided_batch_pcr_stage2_kernelILj512EfEEviiiPKT0_S3_S3_S3_PS1_
                                        ; -- End function
	.set _ZN9rocsparseL44gtsv_nopivot_strided_batch_pcr_stage2_kernelILj512EfEEviiiPKT0_S3_S3_S3_PS1_.num_vgpr, 25
	.set _ZN9rocsparseL44gtsv_nopivot_strided_batch_pcr_stage2_kernelILj512EfEEviiiPKT0_S3_S3_S3_PS1_.num_agpr, 0
	.set _ZN9rocsparseL44gtsv_nopivot_strided_batch_pcr_stage2_kernelILj512EfEEviiiPKT0_S3_S3_S3_PS1_.numbered_sgpr, 17
	.set _ZN9rocsparseL44gtsv_nopivot_strided_batch_pcr_stage2_kernelILj512EfEEviiiPKT0_S3_S3_S3_PS1_.num_named_barrier, 0
	.set _ZN9rocsparseL44gtsv_nopivot_strided_batch_pcr_stage2_kernelILj512EfEEviiiPKT0_S3_S3_S3_PS1_.private_seg_size, 0
	.set _ZN9rocsparseL44gtsv_nopivot_strided_batch_pcr_stage2_kernelILj512EfEEviiiPKT0_S3_S3_S3_PS1_.uses_vcc, 1
	.set _ZN9rocsparseL44gtsv_nopivot_strided_batch_pcr_stage2_kernelILj512EfEEviiiPKT0_S3_S3_S3_PS1_.uses_flat_scratch, 0
	.set _ZN9rocsparseL44gtsv_nopivot_strided_batch_pcr_stage2_kernelILj512EfEEviiiPKT0_S3_S3_S3_PS1_.has_dyn_sized_stack, 0
	.set _ZN9rocsparseL44gtsv_nopivot_strided_batch_pcr_stage2_kernelILj512EfEEviiiPKT0_S3_S3_S3_PS1_.has_recursion, 0
	.set _ZN9rocsparseL44gtsv_nopivot_strided_batch_pcr_stage2_kernelILj512EfEEviiiPKT0_S3_S3_S3_PS1_.has_indirect_call, 0
	.section	.AMDGPU.csdata,"",@progbits
; Kernel info:
; codeLenInByte = 3288
; TotalNumSgprs: 19
; NumVgprs: 25
; ScratchSize: 0
; MemoryBound: 0
; FloatMode: 240
; IeeeMode: 1
; LDSByteSize: 10240 bytes/workgroup (compile time only)
; SGPRBlocks: 0
; VGPRBlocks: 1
; NumSGPRsForWavesPerEU: 19
; NumVGPRsForWavesPerEU: 25
; NamedBarCnt: 0
; Occupancy: 16
; WaveLimiterHint : 0
; COMPUTE_PGM_RSRC2:SCRATCH_EN: 0
; COMPUTE_PGM_RSRC2:USER_SGPR: 2
; COMPUTE_PGM_RSRC2:TRAP_HANDLER: 0
; COMPUTE_PGM_RSRC2:TGID_X_EN: 1
; COMPUTE_PGM_RSRC2:TGID_Y_EN: 1
; COMPUTE_PGM_RSRC2:TGID_Z_EN: 0
; COMPUTE_PGM_RSRC2:TIDIG_COMP_CNT: 0
	.section	.text._ZN9rocsparseL49gtsv_nopivot_strided_batch_pcr_pow2_shared_kernelILj2EdEEviiiPKT0_S3_S3_PS1_,"axG",@progbits,_ZN9rocsparseL49gtsv_nopivot_strided_batch_pcr_pow2_shared_kernelILj2EdEEviiiPKT0_S3_S3_PS1_,comdat
	.globl	_ZN9rocsparseL49gtsv_nopivot_strided_batch_pcr_pow2_shared_kernelILj2EdEEviiiPKT0_S3_S3_PS1_ ; -- Begin function _ZN9rocsparseL49gtsv_nopivot_strided_batch_pcr_pow2_shared_kernelILj2EdEEviiiPKT0_S3_S3_PS1_
	.p2align	8
	.type	_ZN9rocsparseL49gtsv_nopivot_strided_batch_pcr_pow2_shared_kernelILj2EdEEviiiPKT0_S3_S3_PS1_,@function
_ZN9rocsparseL49gtsv_nopivot_strided_batch_pcr_pow2_shared_kernelILj2EdEEviiiPKT0_S3_S3_PS1_: ; @_ZN9rocsparseL49gtsv_nopivot_strided_batch_pcr_pow2_shared_kernelILj2EdEEviiiPKT0_S3_S3_PS1_
; %bb.0:
	s_load_b32 s2, s[0:1], 0x8
	s_bfe_u32 s3, ttmp6, 0x4000c
	s_load_b256 s[4:11], s[0:1], 0x10
	s_add_co_i32 s3, s3, 1
	s_wait_xcnt 0x0
	s_and_b32 s0, ttmp6, 15
	s_mul_i32 s1, ttmp9, s3
	s_getreg_b32 s3, hwreg(HW_REG_IB_STS2, 6, 4)
	s_add_co_i32 s0, s0, s1
	s_cmp_eq_u32 s3, 0
	v_lshlrev_b32_e32 v2, 3, v0
	s_cselect_b32 s0, ttmp9, s0
	v_cmp_eq_u32_e32 vcc_lo, 0, v0
	s_wait_kmcnt 0x0
	v_mad_u32 v4, s2, s0, v0
	s_clause 0x3
	global_load_b64 v[6:7], v4, s[4:5] scale_offset
	global_load_b64 v[8:9], v4, s[6:7] scale_offset
	;; [unrolled: 1-line block ×4, first 2 shown]
	v_ashrrev_i32_e32 v5, 31, v4
	s_wait_loadcnt 0x2
	ds_store_2addr_b64 v2, v[6:7], v[8:9] offset1:4
	s_wait_loadcnt 0x0
	ds_store_2addr_b64 v2, v[10:11], v[12:13] offset0:8 offset1:16
	v_lshl_add_u64 v[0:1], v[4:5], 3, s[10:11]
	s_wait_dscnt 0x0
	; wave barrier
	s_and_saveexec_b32 s0, vcc_lo
	s_cbranch_execz .LBB21_2
; %bb.1:
	v_dual_mov_b32 v3, 0 :: v_dual_bitop2_b32 v8, 64, v2 bitop3:0x54
	v_or_b32_e32 v10, 0x80, v2
	ds_load_2addr_b64 v[4:7], v3 offset0:1 offset1:5
	ds_load_b64 v[8:9], v8
	ds_load_b64 v[10:11], v10
	ds_load_b64 v[12:13], v3 offset:136
	v_or_b32_e32 v16, 32, v2
	ds_load_b64 v[16:17], v16
	s_wait_dscnt 0x3
	v_mul_f64_e32 v[14:15], v[8:9], v[4:5]
	s_wait_dscnt 0x2
	v_mul_f64_e32 v[4:5], v[4:5], v[10:11]
	;; [unrolled: 2-line block ×3, first 2 shown]
	s_wait_dscnt 0x0
	s_delay_alu instid0(VALU_DEP_3) | instskip(NEXT) | instid1(VALU_DEP_2)
	v_fma_f64 v[14:15], v[6:7], v[16:17], -v[14:15]
	v_fma_f64 v[6:7], v[6:7], v[10:11], -v[8:9]
	s_delay_alu instid0(VALU_DEP_4) | instskip(NEXT) | instid1(VALU_DEP_3)
	v_fma_f64 v[10:11], v[16:17], v[12:13], -v[4:5]
	v_div_scale_f64 v[18:19], null, v[14:15], v[14:15], 1.0
	v_div_scale_f64 v[24:25], vcc_lo, 1.0, v[14:15], 1.0
	s_delay_alu instid0(VALU_DEP_2) | instskip(SKIP_1) | instid1(TRANS32_DEP_1)
	v_rcp_f64_e32 v[20:21], v[18:19]
	v_nop
	v_fma_f64 v[22:23], -v[18:19], v[20:21], 1.0
	s_delay_alu instid0(VALU_DEP_1) | instskip(NEXT) | instid1(VALU_DEP_1)
	v_fmac_f64_e32 v[20:21], v[20:21], v[22:23]
	v_fma_f64 v[22:23], -v[18:19], v[20:21], 1.0
	s_delay_alu instid0(VALU_DEP_1) | instskip(NEXT) | instid1(VALU_DEP_1)
	v_fmac_f64_e32 v[20:21], v[20:21], v[22:23]
	v_mul_f64_e32 v[22:23], v[24:25], v[20:21]
	s_delay_alu instid0(VALU_DEP_1) | instskip(NEXT) | instid1(VALU_DEP_1)
	v_fma_f64 v[18:19], -v[18:19], v[22:23], v[24:25]
	v_div_fmas_f64 v[18:19], v[18:19], v[20:21], v[22:23]
	s_delay_alu instid0(VALU_DEP_1) | instskip(NEXT) | instid1(VALU_DEP_1)
	v_div_fixup_f64 v[8:9], v[18:19], v[14:15], 1.0
	v_mul_f64_e32 v[4:5], v[8:9], v[6:7]
	v_mul_f64_e32 v[6:7], v[8:9], v[10:11]
	ds_store_b128 v3, v[4:7] offset:96
.LBB21_2:
	s_or_b32 exec_lo, exec_lo, s0
	s_wait_dscnt 0x0
	; wave barrier
	ds_load_b64 v[2:3], v2 offset:96
	s_wait_dscnt 0x0
	global_store_b64 v[0:1], v[2:3], off
	s_endpgm
	.section	.rodata,"a",@progbits
	.p2align	6, 0x0
	.amdhsa_kernel _ZN9rocsparseL49gtsv_nopivot_strided_batch_pcr_pow2_shared_kernelILj2EdEEviiiPKT0_S3_S3_PS1_
		.amdhsa_group_segment_fixed_size 152
		.amdhsa_private_segment_fixed_size 0
		.amdhsa_kernarg_size 48
		.amdhsa_user_sgpr_count 2
		.amdhsa_user_sgpr_dispatch_ptr 0
		.amdhsa_user_sgpr_queue_ptr 0
		.amdhsa_user_sgpr_kernarg_segment_ptr 1
		.amdhsa_user_sgpr_dispatch_id 0
		.amdhsa_user_sgpr_kernarg_preload_length 0
		.amdhsa_user_sgpr_kernarg_preload_offset 0
		.amdhsa_user_sgpr_private_segment_size 0
		.amdhsa_wavefront_size32 1
		.amdhsa_uses_dynamic_stack 0
		.amdhsa_enable_private_segment 0
		.amdhsa_system_sgpr_workgroup_id_x 1
		.amdhsa_system_sgpr_workgroup_id_y 0
		.amdhsa_system_sgpr_workgroup_id_z 0
		.amdhsa_system_sgpr_workgroup_info 0
		.amdhsa_system_vgpr_workitem_id 0
		.amdhsa_next_free_vgpr 26
		.amdhsa_next_free_sgpr 12
		.amdhsa_named_barrier_count 0
		.amdhsa_reserve_vcc 1
		.amdhsa_float_round_mode_32 0
		.amdhsa_float_round_mode_16_64 0
		.amdhsa_float_denorm_mode_32 3
		.amdhsa_float_denorm_mode_16_64 3
		.amdhsa_fp16_overflow 0
		.amdhsa_memory_ordered 1
		.amdhsa_forward_progress 1
		.amdhsa_inst_pref_size 4
		.amdhsa_round_robin_scheduling 0
		.amdhsa_exception_fp_ieee_invalid_op 0
		.amdhsa_exception_fp_denorm_src 0
		.amdhsa_exception_fp_ieee_div_zero 0
		.amdhsa_exception_fp_ieee_overflow 0
		.amdhsa_exception_fp_ieee_underflow 0
		.amdhsa_exception_fp_ieee_inexact 0
		.amdhsa_exception_int_div_zero 0
	.end_amdhsa_kernel
	.section	.text._ZN9rocsparseL49gtsv_nopivot_strided_batch_pcr_pow2_shared_kernelILj2EdEEviiiPKT0_S3_S3_PS1_,"axG",@progbits,_ZN9rocsparseL49gtsv_nopivot_strided_batch_pcr_pow2_shared_kernelILj2EdEEviiiPKT0_S3_S3_PS1_,comdat
.Lfunc_end21:
	.size	_ZN9rocsparseL49gtsv_nopivot_strided_batch_pcr_pow2_shared_kernelILj2EdEEviiiPKT0_S3_S3_PS1_, .Lfunc_end21-_ZN9rocsparseL49gtsv_nopivot_strided_batch_pcr_pow2_shared_kernelILj2EdEEviiiPKT0_S3_S3_PS1_
                                        ; -- End function
	.set _ZN9rocsparseL49gtsv_nopivot_strided_batch_pcr_pow2_shared_kernelILj2EdEEviiiPKT0_S3_S3_PS1_.num_vgpr, 26
	.set _ZN9rocsparseL49gtsv_nopivot_strided_batch_pcr_pow2_shared_kernelILj2EdEEviiiPKT0_S3_S3_PS1_.num_agpr, 0
	.set _ZN9rocsparseL49gtsv_nopivot_strided_batch_pcr_pow2_shared_kernelILj2EdEEviiiPKT0_S3_S3_PS1_.numbered_sgpr, 12
	.set _ZN9rocsparseL49gtsv_nopivot_strided_batch_pcr_pow2_shared_kernelILj2EdEEviiiPKT0_S3_S3_PS1_.num_named_barrier, 0
	.set _ZN9rocsparseL49gtsv_nopivot_strided_batch_pcr_pow2_shared_kernelILj2EdEEviiiPKT0_S3_S3_PS1_.private_seg_size, 0
	.set _ZN9rocsparseL49gtsv_nopivot_strided_batch_pcr_pow2_shared_kernelILj2EdEEviiiPKT0_S3_S3_PS1_.uses_vcc, 1
	.set _ZN9rocsparseL49gtsv_nopivot_strided_batch_pcr_pow2_shared_kernelILj2EdEEviiiPKT0_S3_S3_PS1_.uses_flat_scratch, 0
	.set _ZN9rocsparseL49gtsv_nopivot_strided_batch_pcr_pow2_shared_kernelILj2EdEEviiiPKT0_S3_S3_PS1_.has_dyn_sized_stack, 0
	.set _ZN9rocsparseL49gtsv_nopivot_strided_batch_pcr_pow2_shared_kernelILj2EdEEviiiPKT0_S3_S3_PS1_.has_recursion, 0
	.set _ZN9rocsparseL49gtsv_nopivot_strided_batch_pcr_pow2_shared_kernelILj2EdEEviiiPKT0_S3_S3_PS1_.has_indirect_call, 0
	.section	.AMDGPU.csdata,"",@progbits
; Kernel info:
; codeLenInByte = 448
; TotalNumSgprs: 14
; NumVgprs: 26
; ScratchSize: 0
; MemoryBound: 1
; FloatMode: 240
; IeeeMode: 1
; LDSByteSize: 152 bytes/workgroup (compile time only)
; SGPRBlocks: 0
; VGPRBlocks: 1
; NumSGPRsForWavesPerEU: 14
; NumVGPRsForWavesPerEU: 26
; NamedBarCnt: 0
; Occupancy: 16
; WaveLimiterHint : 1
; COMPUTE_PGM_RSRC2:SCRATCH_EN: 0
; COMPUTE_PGM_RSRC2:USER_SGPR: 2
; COMPUTE_PGM_RSRC2:TRAP_HANDLER: 0
; COMPUTE_PGM_RSRC2:TGID_X_EN: 1
; COMPUTE_PGM_RSRC2:TGID_Y_EN: 0
; COMPUTE_PGM_RSRC2:TGID_Z_EN: 0
; COMPUTE_PGM_RSRC2:TIDIG_COMP_CNT: 0
	.section	.text._ZN9rocsparseL49gtsv_nopivot_strided_batch_pcr_pow2_shared_kernelILj4EdEEviiiPKT0_S3_S3_PS1_,"axG",@progbits,_ZN9rocsparseL49gtsv_nopivot_strided_batch_pcr_pow2_shared_kernelILj4EdEEviiiPKT0_S3_S3_PS1_,comdat
	.globl	_ZN9rocsparseL49gtsv_nopivot_strided_batch_pcr_pow2_shared_kernelILj4EdEEviiiPKT0_S3_S3_PS1_ ; -- Begin function _ZN9rocsparseL49gtsv_nopivot_strided_batch_pcr_pow2_shared_kernelILj4EdEEviiiPKT0_S3_S3_PS1_
	.p2align	8
	.type	_ZN9rocsparseL49gtsv_nopivot_strided_batch_pcr_pow2_shared_kernelILj4EdEEviiiPKT0_S3_S3_PS1_,@function
_ZN9rocsparseL49gtsv_nopivot_strided_batch_pcr_pow2_shared_kernelILj4EdEEviiiPKT0_S3_S3_PS1_: ; @_ZN9rocsparseL49gtsv_nopivot_strided_batch_pcr_pow2_shared_kernelILj4EdEEviiiPKT0_S3_S3_PS1_
; %bb.0:
	s_load_b32 s2, s[0:1], 0x8
	s_bfe_u32 s3, ttmp6, 0x4000c
	s_load_b256 s[4:11], s[0:1], 0x10
	s_add_co_i32 s3, s3, 1
	s_wait_xcnt 0x0
	s_and_b32 s0, ttmp6, 15
	s_mul_i32 s1, ttmp9, s3
	s_getreg_b32 s3, hwreg(HW_REG_IB_STS2, 6, 4)
	s_add_co_i32 s0, s0, s1
	s_cmp_eq_u32 s3, 0
	v_sub_nc_u32_e64 v1, v0, 1 clamp
	s_cselect_b32 s0, ttmp9, s0
	v_lshlrev_b32_e32 v2, 3, v0
	v_min_u32_e32 v3, 2, v0
	s_delay_alu instid0(VALU_DEP_1)
	v_dual_lshlrev_b32 v1, 3, v1 :: v_dual_lshlrev_b32 v3, 3, v3
	s_wait_kmcnt 0x0
	v_mad_u32 v20, s2, s0, v0
	s_clause 0x3
	global_load_b64 v[4:5], v20, s[4:5] scale_offset
	global_load_b64 v[6:7], v20, s[6:7] scale_offset
	global_load_b64 v[8:9], v20, s[8:9] scale_offset
	global_load_b64 v[10:11], v20, s[10:11] scale_offset
	s_wait_loadcnt 0x2
	ds_store_2addr_b64 v2, v[4:5], v[6:7] offset1:6
	s_wait_loadcnt 0x0
	ds_store_2addr_b64 v2, v[8:9], v[10:11] offset0:12 offset1:24
	s_wait_dscnt 0x0
	; wave barrier
	ds_load_2addr_b64 v[4:7], v1 offset1:6
	ds_load_2addr_b64 v[8:11], v2 offset1:6
	ds_load_2addr_b64 v[12:15], v2 offset0:12 offset1:24
	ds_load_2addr_b64 v[16:19], v3 offset0:1 offset1:7
	v_ashrrev_i32_e32 v21, 31, v20
	s_wait_dscnt 0x2
	v_div_scale_f64 v[22:23], null, v[6:7], v[6:7], v[8:9]
	s_wait_dscnt 0x0
	v_div_scale_f64 v[24:25], null, v[18:19], v[18:19], v[12:13]
	v_div_scale_f64 v[34:35], vcc_lo, v[8:9], v[6:7], v[8:9]
	s_delay_alu instid0(VALU_DEP_3) | instskip(NEXT) | instid1(VALU_DEP_2)
	v_rcp_f64_e32 v[26:27], v[22:23]
	v_rcp_f64_e32 v[28:29], v[24:25]
	s_delay_alu instid0(TRANS32_DEP_2) | instskip(NEXT) | instid1(TRANS32_DEP_1)
	v_fma_f64 v[30:31], -v[22:23], v[26:27], 1.0
	v_fma_f64 v[32:33], -v[24:25], v[28:29], 1.0
	s_delay_alu instid0(VALU_DEP_2) | instskip(NEXT) | instid1(VALU_DEP_2)
	v_fmac_f64_e32 v[26:27], v[26:27], v[30:31]
	v_fmac_f64_e32 v[28:29], v[28:29], v[32:33]
	s_delay_alu instid0(VALU_DEP_2) | instskip(NEXT) | instid1(VALU_DEP_2)
	v_fma_f64 v[30:31], -v[22:23], v[26:27], 1.0
	v_fma_f64 v[32:33], -v[24:25], v[28:29], 1.0
	s_delay_alu instid0(VALU_DEP_2) | instskip(SKIP_1) | instid1(VALU_DEP_3)
	v_fmac_f64_e32 v[26:27], v[26:27], v[30:31]
	v_div_scale_f64 v[30:31], s0, v[12:13], v[18:19], v[12:13]
	v_fmac_f64_e32 v[28:29], v[28:29], v[32:33]
	s_delay_alu instid0(VALU_DEP_3) | instskip(NEXT) | instid1(VALU_DEP_2)
	v_mul_f64_e32 v[32:33], v[34:35], v[26:27]
	v_mul_f64_e32 v[36:37], v[30:31], v[28:29]
	s_delay_alu instid0(VALU_DEP_2) | instskip(NEXT) | instid1(VALU_DEP_2)
	v_fma_f64 v[22:23], -v[22:23], v[32:33], v[34:35]
	v_fma_f64 v[24:25], -v[24:25], v[36:37], v[30:31]
	s_delay_alu instid0(VALU_DEP_2) | instskip(SKIP_1) | instid1(VALU_DEP_2)
	v_div_fmas_f64 v[22:23], v[22:23], v[26:27], v[32:33]
	s_mov_b32 vcc_lo, s0
	v_div_fmas_f64 v[24:25], v[24:25], v[28:29], v[36:37]
	v_cmp_gt_u32_e32 vcc_lo, 2, v0
	s_delay_alu instid0(VALU_DEP_3)
	v_div_fixup_f64 v[22:23], v[22:23], v[6:7], v[8:9]
	ds_load_2addr_b64 v[6:9], v1 offset0:12 offset1:24
	v_lshl_add_u64 v[0:1], v[20:21], 3, s[10:11]
	v_div_fixup_f64 v[12:13], v[24:25], v[18:19], v[12:13]
	s_wait_dscnt 0x0
	v_fma_f64 v[10:11], -v[22:23], v[6:7], v[10:11]
	v_fma_f64 v[14:15], -v[22:23], v[8:9], v[14:15]
	ds_load_2addr_b64 v[6:9], v3 offset0:13 offset1:25
	v_mul_f64_e64 v[4:5], v[22:23], -v[4:5]
	s_wait_dscnt 0x0
	; wave barrier
	v_mul_f64_e64 v[6:7], v[12:13], -v[6:7]
	v_fma_f64 v[10:11], -v[12:13], v[16:17], v[10:11]
	v_fma_f64 v[8:9], -v[12:13], v[8:9], v[14:15]
	ds_store_2addr_b64 v2, v[4:5], v[10:11] offset1:6
	ds_store_2addr_b64 v2, v[6:7], v[8:9] offset0:12 offset1:24
	s_wait_dscnt 0x0
	; wave barrier
	s_and_saveexec_b32 s0, vcc_lo
	s_cbranch_execz .LBB22_2
; %bb.1:
	v_or_b32_e32 v3, 0x60, v2
	ds_load_b64 v[12:13], v3
	ds_load_b64 v[14:15], v2 offset:16
	s_wait_dscnt 0x0
	v_mul_f64_e32 v[8:9], v[12:13], v[14:15]
	v_add_nc_u32_e32 v3, 48, v2
	ds_load_2addr_b64 v[4:7], v3 offset1:2
	v_or_b32_e32 v3, 0xc0, v2
	s_wait_dscnt 0x0
	v_fma_f64 v[16:17], v[6:7], v[4:5], -v[8:9]
	s_delay_alu instid0(VALU_DEP_1) | instskip(SKIP_1) | instid1(VALU_DEP_2)
	v_div_scale_f64 v[8:9], null, v[16:17], v[16:17], 1.0
	v_div_scale_f64 v[20:21], vcc_lo, 1.0, v[16:17], 1.0
	v_rcp_f64_e32 v[18:19], v[8:9]
	v_nop
	s_delay_alu instid0(TRANS32_DEP_1) | instskip(NEXT) | instid1(VALU_DEP_1)
	v_fma_f64 v[10:11], -v[8:9], v[18:19], 1.0
	v_fmac_f64_e32 v[18:19], v[18:19], v[10:11]
	s_delay_alu instid0(VALU_DEP_1) | instskip(NEXT) | instid1(VALU_DEP_1)
	v_fma_f64 v[10:11], -v[8:9], v[18:19], 1.0
	v_fmac_f64_e32 v[18:19], v[18:19], v[10:11]
	s_delay_alu instid0(VALU_DEP_1) | instskip(NEXT) | instid1(VALU_DEP_1)
	v_mul_f64_e32 v[22:23], v[20:21], v[18:19]
	v_fma_f64 v[20:21], -v[8:9], v[22:23], v[20:21]
	ds_load_2addr_b64 v[8:11], v3 offset1:2
	s_wait_dscnt 0x0
	v_mul_f64_e32 v[12:13], v[12:13], v[10:11]
	v_mul_f64_e32 v[14:15], v[14:15], v[8:9]
	v_div_fmas_f64 v[18:19], v[20:21], v[18:19], v[22:23]
	s_delay_alu instid0(VALU_DEP_3) | instskip(NEXT) | instid1(VALU_DEP_3)
	v_fma_f64 v[6:7], v[6:7], v[8:9], -v[12:13]
	v_fma_f64 v[4:5], v[4:5], v[10:11], -v[14:15]
	s_delay_alu instid0(VALU_DEP_3) | instskip(NEXT) | instid1(VALU_DEP_1)
	v_div_fixup_f64 v[8:9], v[18:19], v[16:17], 1.0
	v_mul_f64_e32 v[6:7], v[8:9], v[6:7]
	s_delay_alu instid0(VALU_DEP_3)
	v_mul_f64_e32 v[4:5], v[8:9], v[4:5]
	ds_store_2addr_b64 v2, v[6:7], v[4:5] offset0:18 offset1:20
.LBB22_2:
	s_or_b32 exec_lo, exec_lo, s0
	s_wait_dscnt 0x0
	; wave barrier
	ds_load_b64 v[2:3], v2 offset:144
	s_wait_dscnt 0x0
	global_store_b64 v[0:1], v[2:3], off
	s_endpgm
	.section	.rodata,"a",@progbits
	.p2align	6, 0x0
	.amdhsa_kernel _ZN9rocsparseL49gtsv_nopivot_strided_batch_pcr_pow2_shared_kernelILj4EdEEviiiPKT0_S3_S3_PS1_
		.amdhsa_group_segment_fixed_size 232
		.amdhsa_private_segment_fixed_size 0
		.amdhsa_kernarg_size 48
		.amdhsa_user_sgpr_count 2
		.amdhsa_user_sgpr_dispatch_ptr 0
		.amdhsa_user_sgpr_queue_ptr 0
		.amdhsa_user_sgpr_kernarg_segment_ptr 1
		.amdhsa_user_sgpr_dispatch_id 0
		.amdhsa_user_sgpr_kernarg_preload_length 0
		.amdhsa_user_sgpr_kernarg_preload_offset 0
		.amdhsa_user_sgpr_private_segment_size 0
		.amdhsa_wavefront_size32 1
		.amdhsa_uses_dynamic_stack 0
		.amdhsa_enable_private_segment 0
		.amdhsa_system_sgpr_workgroup_id_x 1
		.amdhsa_system_sgpr_workgroup_id_y 0
		.amdhsa_system_sgpr_workgroup_id_z 0
		.amdhsa_system_sgpr_workgroup_info 0
		.amdhsa_system_vgpr_workitem_id 0
		.amdhsa_next_free_vgpr 38
		.amdhsa_next_free_sgpr 12
		.amdhsa_named_barrier_count 0
		.amdhsa_reserve_vcc 1
		.amdhsa_float_round_mode_32 0
		.amdhsa_float_round_mode_16_64 0
		.amdhsa_float_denorm_mode_32 3
		.amdhsa_float_denorm_mode_16_64 3
		.amdhsa_fp16_overflow 0
		.amdhsa_memory_ordered 1
		.amdhsa_forward_progress 1
		.amdhsa_inst_pref_size 7
		.amdhsa_round_robin_scheduling 0
		.amdhsa_exception_fp_ieee_invalid_op 0
		.amdhsa_exception_fp_denorm_src 0
		.amdhsa_exception_fp_ieee_div_zero 0
		.amdhsa_exception_fp_ieee_overflow 0
		.amdhsa_exception_fp_ieee_underflow 0
		.amdhsa_exception_fp_ieee_inexact 0
		.amdhsa_exception_int_div_zero 0
	.end_amdhsa_kernel
	.section	.text._ZN9rocsparseL49gtsv_nopivot_strided_batch_pcr_pow2_shared_kernelILj4EdEEviiiPKT0_S3_S3_PS1_,"axG",@progbits,_ZN9rocsparseL49gtsv_nopivot_strided_batch_pcr_pow2_shared_kernelILj4EdEEviiiPKT0_S3_S3_PS1_,comdat
.Lfunc_end22:
	.size	_ZN9rocsparseL49gtsv_nopivot_strided_batch_pcr_pow2_shared_kernelILj4EdEEviiiPKT0_S3_S3_PS1_, .Lfunc_end22-_ZN9rocsparseL49gtsv_nopivot_strided_batch_pcr_pow2_shared_kernelILj4EdEEviiiPKT0_S3_S3_PS1_
                                        ; -- End function
	.set _ZN9rocsparseL49gtsv_nopivot_strided_batch_pcr_pow2_shared_kernelILj4EdEEviiiPKT0_S3_S3_PS1_.num_vgpr, 38
	.set _ZN9rocsparseL49gtsv_nopivot_strided_batch_pcr_pow2_shared_kernelILj4EdEEviiiPKT0_S3_S3_PS1_.num_agpr, 0
	.set _ZN9rocsparseL49gtsv_nopivot_strided_batch_pcr_pow2_shared_kernelILj4EdEEviiiPKT0_S3_S3_PS1_.numbered_sgpr, 12
	.set _ZN9rocsparseL49gtsv_nopivot_strided_batch_pcr_pow2_shared_kernelILj4EdEEviiiPKT0_S3_S3_PS1_.num_named_barrier, 0
	.set _ZN9rocsparseL49gtsv_nopivot_strided_batch_pcr_pow2_shared_kernelILj4EdEEviiiPKT0_S3_S3_PS1_.private_seg_size, 0
	.set _ZN9rocsparseL49gtsv_nopivot_strided_batch_pcr_pow2_shared_kernelILj4EdEEviiiPKT0_S3_S3_PS1_.uses_vcc, 1
	.set _ZN9rocsparseL49gtsv_nopivot_strided_batch_pcr_pow2_shared_kernelILj4EdEEviiiPKT0_S3_S3_PS1_.uses_flat_scratch, 0
	.set _ZN9rocsparseL49gtsv_nopivot_strided_batch_pcr_pow2_shared_kernelILj4EdEEviiiPKT0_S3_S3_PS1_.has_dyn_sized_stack, 0
	.set _ZN9rocsparseL49gtsv_nopivot_strided_batch_pcr_pow2_shared_kernelILj4EdEEviiiPKT0_S3_S3_PS1_.has_recursion, 0
	.set _ZN9rocsparseL49gtsv_nopivot_strided_batch_pcr_pow2_shared_kernelILj4EdEEviiiPKT0_S3_S3_PS1_.has_indirect_call, 0
	.section	.AMDGPU.csdata,"",@progbits
; Kernel info:
; codeLenInByte = 776
; TotalNumSgprs: 14
; NumVgprs: 38
; ScratchSize: 0
; MemoryBound: 1
; FloatMode: 240
; IeeeMode: 1
; LDSByteSize: 232 bytes/workgroup (compile time only)
; SGPRBlocks: 0
; VGPRBlocks: 2
; NumSGPRsForWavesPerEU: 14
; NumVGPRsForWavesPerEU: 38
; NamedBarCnt: 0
; Occupancy: 16
; WaveLimiterHint : 1
; COMPUTE_PGM_RSRC2:SCRATCH_EN: 0
; COMPUTE_PGM_RSRC2:USER_SGPR: 2
; COMPUTE_PGM_RSRC2:TRAP_HANDLER: 0
; COMPUTE_PGM_RSRC2:TGID_X_EN: 1
; COMPUTE_PGM_RSRC2:TGID_Y_EN: 0
; COMPUTE_PGM_RSRC2:TGID_Z_EN: 0
; COMPUTE_PGM_RSRC2:TIDIG_COMP_CNT: 0
	.section	.text._ZN9rocsparseL49gtsv_nopivot_strided_batch_pcr_pow2_shared_kernelILj8EdEEviiiPKT0_S3_S3_PS1_,"axG",@progbits,_ZN9rocsparseL49gtsv_nopivot_strided_batch_pcr_pow2_shared_kernelILj8EdEEviiiPKT0_S3_S3_PS1_,comdat
	.globl	_ZN9rocsparseL49gtsv_nopivot_strided_batch_pcr_pow2_shared_kernelILj8EdEEviiiPKT0_S3_S3_PS1_ ; -- Begin function _ZN9rocsparseL49gtsv_nopivot_strided_batch_pcr_pow2_shared_kernelILj8EdEEviiiPKT0_S3_S3_PS1_
	.p2align	8
	.type	_ZN9rocsparseL49gtsv_nopivot_strided_batch_pcr_pow2_shared_kernelILj8EdEEviiiPKT0_S3_S3_PS1_,@function
_ZN9rocsparseL49gtsv_nopivot_strided_batch_pcr_pow2_shared_kernelILj8EdEEviiiPKT0_S3_S3_PS1_: ; @_ZN9rocsparseL49gtsv_nopivot_strided_batch_pcr_pow2_shared_kernelILj8EdEEviiiPKT0_S3_S3_PS1_
; %bb.0:
	s_load_b32 s2, s[0:1], 0x8
	s_bfe_u32 s3, ttmp6, 0x4000c
	s_load_b256 s[4:11], s[0:1], 0x10
	s_add_co_i32 s3, s3, 1
	s_wait_xcnt 0x0
	s_and_b32 s0, ttmp6, 15
	s_mul_i32 s1, ttmp9, s3
	s_getreg_b32 s3, hwreg(HW_REG_IB_STS2, 6, 4)
	s_add_co_i32 s0, s0, s1
	s_cmp_eq_u32 s3, 0
	v_sub_nc_u32_e64 v1, v0, 1 clamp
	s_cselect_b32 s0, ttmp9, s0
	v_lshlrev_b32_e32 v2, 3, v0
	v_min_u32_e32 v3, 6, v0
	s_delay_alu instid0(VALU_DEP_1)
	v_dual_lshlrev_b32 v1, 3, v1 :: v_dual_lshlrev_b32 v3, 3, v3
	s_wait_kmcnt 0x0
	v_mad_u32 v24, s2, s0, v0
	s_clause 0x3
	global_load_b64 v[4:5], v24, s[4:5] scale_offset
	global_load_b64 v[6:7], v24, s[6:7] scale_offset
	;; [unrolled: 1-line block ×4, first 2 shown]
	s_wait_loadcnt 0x2
	ds_store_2addr_b64 v2, v[4:5], v[6:7] offset1:10
	s_wait_loadcnt 0x0
	ds_store_2addr_b64 v2, v[8:9], v[10:11] offset0:20 offset1:40
	s_wait_dscnt 0x0
	; wave barrier
	ds_load_2addr_b64 v[4:7], v2 offset1:10
	ds_load_2addr_b64 v[8:11], v1 offset1:10
	ds_load_2addr_b64 v[12:15], v2 offset0:20 offset1:40
	ds_load_2addr_b64 v[16:19], v3 offset0:1 offset1:11
	v_ashrrev_i32_e32 v25, 31, v24
	s_wait_dscnt 0x2
	v_div_scale_f64 v[20:21], null, v[10:11], v[10:11], v[4:5]
	s_wait_dscnt 0x0
	v_div_scale_f64 v[22:23], null, v[18:19], v[18:19], v[12:13]
	v_div_scale_f64 v[34:35], vcc_lo, v[4:5], v[10:11], v[4:5]
	s_delay_alu instid0(VALU_DEP_3) | instskip(NEXT) | instid1(VALU_DEP_2)
	v_rcp_f64_e32 v[26:27], v[20:21]
	v_rcp_f64_e32 v[28:29], v[22:23]
	s_delay_alu instid0(TRANS32_DEP_2) | instskip(NEXT) | instid1(TRANS32_DEP_1)
	v_fma_f64 v[30:31], -v[20:21], v[26:27], 1.0
	v_fma_f64 v[32:33], -v[22:23], v[28:29], 1.0
	s_delay_alu instid0(VALU_DEP_2) | instskip(NEXT) | instid1(VALU_DEP_2)
	v_fmac_f64_e32 v[26:27], v[26:27], v[30:31]
	v_fmac_f64_e32 v[28:29], v[28:29], v[32:33]
	s_delay_alu instid0(VALU_DEP_2) | instskip(NEXT) | instid1(VALU_DEP_2)
	v_fma_f64 v[30:31], -v[20:21], v[26:27], 1.0
	v_fma_f64 v[32:33], -v[22:23], v[28:29], 1.0
	s_delay_alu instid0(VALU_DEP_2) | instskip(SKIP_1) | instid1(VALU_DEP_3)
	v_fmac_f64_e32 v[26:27], v[26:27], v[30:31]
	v_div_scale_f64 v[30:31], s0, v[12:13], v[18:19], v[12:13]
	v_fmac_f64_e32 v[28:29], v[28:29], v[32:33]
	s_delay_alu instid0(VALU_DEP_3) | instskip(NEXT) | instid1(VALU_DEP_2)
	v_mul_f64_e32 v[32:33], v[34:35], v[26:27]
	v_mul_f64_e32 v[36:37], v[30:31], v[28:29]
	s_delay_alu instid0(VALU_DEP_2) | instskip(NEXT) | instid1(VALU_DEP_2)
	v_fma_f64 v[20:21], -v[20:21], v[32:33], v[34:35]
	v_fma_f64 v[22:23], -v[22:23], v[36:37], v[30:31]
	s_delay_alu instid0(VALU_DEP_2) | instskip(SKIP_1) | instid1(VALU_DEP_2)
	v_div_fmas_f64 v[20:21], v[20:21], v[26:27], v[32:33]
	s_mov_b32 vcc_lo, s0
	v_div_fmas_f64 v[26:27], v[22:23], v[28:29], v[36:37]
	s_delay_alu instid0(VALU_DEP_2) | instskip(SKIP_3) | instid1(VALU_DEP_2)
	v_div_fixup_f64 v[10:11], v[20:21], v[10:11], v[4:5]
	ds_load_2addr_b64 v[20:23], v1 offset0:20 offset1:40
	v_sub_nc_u32_e64 v1, v0, 2 clamp
	v_div_fixup_f64 v[12:13], v[26:27], v[18:19], v[12:13]
	v_lshlrev_b32_e32 v1, 3, v1
	s_wait_dscnt 0x0
	v_fma_f64 v[18:19], -v[10:11], v[20:21], v[6:7]
	v_fma_f64 v[14:15], -v[10:11], v[22:23], v[14:15]
	ds_load_2addr_b64 v[4:7], v3 offset0:21 offset1:41
	v_mul_f64_e64 v[8:9], v[10:11], -v[8:9]
	s_wait_dscnt 0x0
	; wave barrier
	v_min_u32_e32 v3, 5, v0
	s_delay_alu instid0(VALU_DEP_1)
	v_dual_mul_f64 v[4:5], v[12:13], -v[4:5] :: v_dual_lshlrev_b32 v3, 3, v3
	v_fma_f64 v[10:11], -v[12:13], v[16:17], v[18:19]
	v_fma_f64 v[6:7], -v[12:13], v[6:7], v[14:15]
	ds_store_2addr_b64 v2, v[8:9], v[10:11] offset1:10
	ds_store_2addr_b64 v2, v[4:5], v[6:7] offset0:20 offset1:40
	s_wait_dscnt 0x0
	; wave barrier
	ds_load_2addr_b64 v[4:7], v2 offset1:10
	ds_load_2addr_b64 v[8:11], v1 offset1:10
	ds_load_2addr_b64 v[12:15], v2 offset0:20 offset1:40
	ds_load_2addr_b64 v[16:19], v3 offset0:2 offset1:12
	s_wait_dscnt 0x2
	v_div_scale_f64 v[20:21], null, v[10:11], v[10:11], v[4:5]
	s_wait_dscnt 0x0
	v_div_scale_f64 v[22:23], null, v[18:19], v[18:19], v[12:13]
	v_div_scale_f64 v[34:35], vcc_lo, v[4:5], v[10:11], v[4:5]
	s_delay_alu instid0(VALU_DEP_3) | instskip(NEXT) | instid1(VALU_DEP_2)
	v_rcp_f64_e32 v[26:27], v[20:21]
	v_rcp_f64_e32 v[28:29], v[22:23]
	s_delay_alu instid0(TRANS32_DEP_2) | instskip(NEXT) | instid1(TRANS32_DEP_1)
	v_fma_f64 v[30:31], -v[20:21], v[26:27], 1.0
	v_fma_f64 v[32:33], -v[22:23], v[28:29], 1.0
	s_delay_alu instid0(VALU_DEP_2) | instskip(NEXT) | instid1(VALU_DEP_2)
	v_fmac_f64_e32 v[26:27], v[26:27], v[30:31]
	v_fmac_f64_e32 v[28:29], v[28:29], v[32:33]
	s_delay_alu instid0(VALU_DEP_2) | instskip(NEXT) | instid1(VALU_DEP_2)
	v_fma_f64 v[30:31], -v[20:21], v[26:27], 1.0
	v_fma_f64 v[32:33], -v[22:23], v[28:29], 1.0
	s_delay_alu instid0(VALU_DEP_2) | instskip(SKIP_1) | instid1(VALU_DEP_3)
	v_fmac_f64_e32 v[26:27], v[26:27], v[30:31]
	v_div_scale_f64 v[30:31], s0, v[12:13], v[18:19], v[12:13]
	v_fmac_f64_e32 v[28:29], v[28:29], v[32:33]
	s_delay_alu instid0(VALU_DEP_3) | instskip(NEXT) | instid1(VALU_DEP_2)
	v_mul_f64_e32 v[32:33], v[34:35], v[26:27]
	v_mul_f64_e32 v[36:37], v[30:31], v[28:29]
	s_delay_alu instid0(VALU_DEP_2) | instskip(NEXT) | instid1(VALU_DEP_2)
	v_fma_f64 v[20:21], -v[20:21], v[32:33], v[34:35]
	v_fma_f64 v[22:23], -v[22:23], v[36:37], v[30:31]
	s_delay_alu instid0(VALU_DEP_2) | instskip(SKIP_1) | instid1(VALU_DEP_2)
	v_div_fmas_f64 v[20:21], v[20:21], v[26:27], v[32:33]
	s_mov_b32 vcc_lo, s0
	v_div_fmas_f64 v[26:27], v[22:23], v[28:29], v[36:37]
	v_cmp_gt_u32_e32 vcc_lo, 4, v0
	s_delay_alu instid0(VALU_DEP_3)
	v_div_fixup_f64 v[10:11], v[20:21], v[10:11], v[4:5]
	ds_load_2addr_b64 v[20:23], v1 offset0:20 offset1:40
	v_lshl_add_u64 v[0:1], v[24:25], 3, s[10:11]
	v_div_fixup_f64 v[12:13], v[26:27], v[18:19], v[12:13]
	s_wait_dscnt 0x0
	v_fma_f64 v[18:19], -v[10:11], v[20:21], v[6:7]
	v_fma_f64 v[14:15], -v[10:11], v[22:23], v[14:15]
	ds_load_2addr_b64 v[4:7], v3 offset0:22 offset1:42
	v_mul_f64_e64 v[8:9], v[10:11], -v[8:9]
	s_wait_dscnt 0x0
	; wave barrier
	v_mul_f64_e64 v[4:5], v[12:13], -v[4:5]
	v_fma_f64 v[10:11], -v[12:13], v[16:17], v[18:19]
	v_fma_f64 v[6:7], -v[12:13], v[6:7], v[14:15]
	ds_store_2addr_b64 v2, v[8:9], v[10:11] offset1:10
	ds_store_2addr_b64 v2, v[4:5], v[6:7] offset0:20 offset1:40
	s_wait_dscnt 0x0
	; wave barrier
	s_and_saveexec_b32 s0, vcc_lo
	s_cbranch_execz .LBB23_2
; %bb.1:
	v_add_nc_u32_e32 v3, 0xa0, v2
	ds_load_b64 v[12:13], v3
	ds_load_b64 v[14:15], v2 offset:32
	v_add_nc_u32_e32 v3, 0x50, v2
	ds_load_2addr_b64 v[4:7], v3 offset1:4
	v_or_b32_e32 v3, 0x140, v2
	s_wait_dscnt 0x1
	v_mul_f64_e32 v[8:9], v[12:13], v[14:15]
	s_wait_dscnt 0x0
	s_delay_alu instid0(VALU_DEP_1) | instskip(NEXT) | instid1(VALU_DEP_1)
	v_fma_f64 v[16:17], v[6:7], v[4:5], -v[8:9]
	v_div_scale_f64 v[8:9], null, v[16:17], v[16:17], 1.0
	v_div_scale_f64 v[20:21], vcc_lo, 1.0, v[16:17], 1.0
	s_delay_alu instid0(VALU_DEP_2) | instskip(SKIP_1) | instid1(TRANS32_DEP_1)
	v_rcp_f64_e32 v[18:19], v[8:9]
	v_nop
	v_fma_f64 v[10:11], -v[8:9], v[18:19], 1.0
	s_delay_alu instid0(VALU_DEP_1) | instskip(NEXT) | instid1(VALU_DEP_1)
	v_fmac_f64_e32 v[18:19], v[18:19], v[10:11]
	v_fma_f64 v[10:11], -v[8:9], v[18:19], 1.0
	s_delay_alu instid0(VALU_DEP_1) | instskip(NEXT) | instid1(VALU_DEP_1)
	v_fmac_f64_e32 v[18:19], v[18:19], v[10:11]
	v_mul_f64_e32 v[22:23], v[20:21], v[18:19]
	s_delay_alu instid0(VALU_DEP_1)
	v_fma_f64 v[20:21], -v[8:9], v[22:23], v[20:21]
	ds_load_2addr_b64 v[8:11], v3 offset1:4
	s_wait_dscnt 0x0
	v_mul_f64_e32 v[12:13], v[12:13], v[10:11]
	v_mul_f64_e32 v[14:15], v[14:15], v[8:9]
	v_div_fmas_f64 v[18:19], v[20:21], v[18:19], v[22:23]
	s_delay_alu instid0(VALU_DEP_3) | instskip(NEXT) | instid1(VALU_DEP_3)
	v_fma_f64 v[6:7], v[6:7], v[8:9], -v[12:13]
	v_fma_f64 v[4:5], v[4:5], v[10:11], -v[14:15]
	s_delay_alu instid0(VALU_DEP_3) | instskip(NEXT) | instid1(VALU_DEP_1)
	v_div_fixup_f64 v[8:9], v[18:19], v[16:17], 1.0
	v_mul_f64_e32 v[6:7], v[8:9], v[6:7]
	s_delay_alu instid0(VALU_DEP_3)
	v_mul_f64_e32 v[4:5], v[8:9], v[4:5]
	ds_store_2addr_b64 v2, v[6:7], v[4:5] offset0:30 offset1:34
.LBB23_2:
	s_or_b32 exec_lo, exec_lo, s0
	s_wait_dscnt 0x0
	; wave barrier
	ds_load_b64 v[2:3], v2 offset:240
	s_wait_dscnt 0x0
	global_store_b64 v[0:1], v[2:3], off
	s_endpgm
	.section	.rodata,"a",@progbits
	.p2align	6, 0x0
	.amdhsa_kernel _ZN9rocsparseL49gtsv_nopivot_strided_batch_pcr_pow2_shared_kernelILj8EdEEviiiPKT0_S3_S3_PS1_
		.amdhsa_group_segment_fixed_size 392
		.amdhsa_private_segment_fixed_size 0
		.amdhsa_kernarg_size 48
		.amdhsa_user_sgpr_count 2
		.amdhsa_user_sgpr_dispatch_ptr 0
		.amdhsa_user_sgpr_queue_ptr 0
		.amdhsa_user_sgpr_kernarg_segment_ptr 1
		.amdhsa_user_sgpr_dispatch_id 0
		.amdhsa_user_sgpr_kernarg_preload_length 0
		.amdhsa_user_sgpr_kernarg_preload_offset 0
		.amdhsa_user_sgpr_private_segment_size 0
		.amdhsa_wavefront_size32 1
		.amdhsa_uses_dynamic_stack 0
		.amdhsa_enable_private_segment 0
		.amdhsa_system_sgpr_workgroup_id_x 1
		.amdhsa_system_sgpr_workgroup_id_y 0
		.amdhsa_system_sgpr_workgroup_id_z 0
		.amdhsa_system_sgpr_workgroup_info 0
		.amdhsa_system_vgpr_workitem_id 0
		.amdhsa_next_free_vgpr 38
		.amdhsa_next_free_sgpr 12
		.amdhsa_named_barrier_count 0
		.amdhsa_reserve_vcc 1
		.amdhsa_float_round_mode_32 0
		.amdhsa_float_round_mode_16_64 0
		.amdhsa_float_denorm_mode_32 3
		.amdhsa_float_denorm_mode_16_64 3
		.amdhsa_fp16_overflow 0
		.amdhsa_memory_ordered 1
		.amdhsa_forward_progress 1
		.amdhsa_inst_pref_size 9
		.amdhsa_round_robin_scheduling 0
		.amdhsa_exception_fp_ieee_invalid_op 0
		.amdhsa_exception_fp_denorm_src 0
		.amdhsa_exception_fp_ieee_div_zero 0
		.amdhsa_exception_fp_ieee_overflow 0
		.amdhsa_exception_fp_ieee_underflow 0
		.amdhsa_exception_fp_ieee_inexact 0
		.amdhsa_exception_int_div_zero 0
	.end_amdhsa_kernel
	.section	.text._ZN9rocsparseL49gtsv_nopivot_strided_batch_pcr_pow2_shared_kernelILj8EdEEviiiPKT0_S3_S3_PS1_,"axG",@progbits,_ZN9rocsparseL49gtsv_nopivot_strided_batch_pcr_pow2_shared_kernelILj8EdEEviiiPKT0_S3_S3_PS1_,comdat
.Lfunc_end23:
	.size	_ZN9rocsparseL49gtsv_nopivot_strided_batch_pcr_pow2_shared_kernelILj8EdEEviiiPKT0_S3_S3_PS1_, .Lfunc_end23-_ZN9rocsparseL49gtsv_nopivot_strided_batch_pcr_pow2_shared_kernelILj8EdEEviiiPKT0_S3_S3_PS1_
                                        ; -- End function
	.set _ZN9rocsparseL49gtsv_nopivot_strided_batch_pcr_pow2_shared_kernelILj8EdEEviiiPKT0_S3_S3_PS1_.num_vgpr, 38
	.set _ZN9rocsparseL49gtsv_nopivot_strided_batch_pcr_pow2_shared_kernelILj8EdEEviiiPKT0_S3_S3_PS1_.num_agpr, 0
	.set _ZN9rocsparseL49gtsv_nopivot_strided_batch_pcr_pow2_shared_kernelILj8EdEEviiiPKT0_S3_S3_PS1_.numbered_sgpr, 12
	.set _ZN9rocsparseL49gtsv_nopivot_strided_batch_pcr_pow2_shared_kernelILj8EdEEviiiPKT0_S3_S3_PS1_.num_named_barrier, 0
	.set _ZN9rocsparseL49gtsv_nopivot_strided_batch_pcr_pow2_shared_kernelILj8EdEEviiiPKT0_S3_S3_PS1_.private_seg_size, 0
	.set _ZN9rocsparseL49gtsv_nopivot_strided_batch_pcr_pow2_shared_kernelILj8EdEEviiiPKT0_S3_S3_PS1_.uses_vcc, 1
	.set _ZN9rocsparseL49gtsv_nopivot_strided_batch_pcr_pow2_shared_kernelILj8EdEEviiiPKT0_S3_S3_PS1_.uses_flat_scratch, 0
	.set _ZN9rocsparseL49gtsv_nopivot_strided_batch_pcr_pow2_shared_kernelILj8EdEEviiiPKT0_S3_S3_PS1_.has_dyn_sized_stack, 0
	.set _ZN9rocsparseL49gtsv_nopivot_strided_batch_pcr_pow2_shared_kernelILj8EdEEviiiPKT0_S3_S3_PS1_.has_recursion, 0
	.set _ZN9rocsparseL49gtsv_nopivot_strided_batch_pcr_pow2_shared_kernelILj8EdEEviiiPKT0_S3_S3_PS1_.has_indirect_call, 0
	.section	.AMDGPU.csdata,"",@progbits
; Kernel info:
; codeLenInByte = 1124
; TotalNumSgprs: 14
; NumVgprs: 38
; ScratchSize: 0
; MemoryBound: 1
; FloatMode: 240
; IeeeMode: 1
; LDSByteSize: 392 bytes/workgroup (compile time only)
; SGPRBlocks: 0
; VGPRBlocks: 2
; NumSGPRsForWavesPerEU: 14
; NumVGPRsForWavesPerEU: 38
; NamedBarCnt: 0
; Occupancy: 16
; WaveLimiterHint : 1
; COMPUTE_PGM_RSRC2:SCRATCH_EN: 0
; COMPUTE_PGM_RSRC2:USER_SGPR: 2
; COMPUTE_PGM_RSRC2:TRAP_HANDLER: 0
; COMPUTE_PGM_RSRC2:TGID_X_EN: 1
; COMPUTE_PGM_RSRC2:TGID_Y_EN: 0
; COMPUTE_PGM_RSRC2:TGID_Z_EN: 0
; COMPUTE_PGM_RSRC2:TIDIG_COMP_CNT: 0
	.section	.text._ZN9rocsparseL49gtsv_nopivot_strided_batch_pcr_pow2_shared_kernelILj16EdEEviiiPKT0_S3_S3_PS1_,"axG",@progbits,_ZN9rocsparseL49gtsv_nopivot_strided_batch_pcr_pow2_shared_kernelILj16EdEEviiiPKT0_S3_S3_PS1_,comdat
	.globl	_ZN9rocsparseL49gtsv_nopivot_strided_batch_pcr_pow2_shared_kernelILj16EdEEviiiPKT0_S3_S3_PS1_ ; -- Begin function _ZN9rocsparseL49gtsv_nopivot_strided_batch_pcr_pow2_shared_kernelILj16EdEEviiiPKT0_S3_S3_PS1_
	.p2align	8
	.type	_ZN9rocsparseL49gtsv_nopivot_strided_batch_pcr_pow2_shared_kernelILj16EdEEviiiPKT0_S3_S3_PS1_,@function
_ZN9rocsparseL49gtsv_nopivot_strided_batch_pcr_pow2_shared_kernelILj16EdEEviiiPKT0_S3_S3_PS1_: ; @_ZN9rocsparseL49gtsv_nopivot_strided_batch_pcr_pow2_shared_kernelILj16EdEEviiiPKT0_S3_S3_PS1_
; %bb.0:
	s_load_b32 s2, s[0:1], 0x8
	s_bfe_u32 s3, ttmp6, 0x4000c
	s_load_b256 s[4:11], s[0:1], 0x10
	s_add_co_i32 s3, s3, 1
	s_wait_xcnt 0x0
	s_and_b32 s0, ttmp6, 15
	s_mul_i32 s1, ttmp9, s3
	s_getreg_b32 s3, hwreg(HW_REG_IB_STS2, 6, 4)
	s_add_co_i32 s0, s0, s1
	s_cmp_eq_u32 s3, 0
	v_sub_nc_u32_e64 v1, v0, 1 clamp
	s_cselect_b32 s0, ttmp9, s0
	v_lshlrev_b32_e32 v2, 3, v0
	v_min_u32_e32 v3, 14, v0
	s_delay_alu instid0(VALU_DEP_1)
	v_dual_lshlrev_b32 v1, 3, v1 :: v_dual_lshlrev_b32 v3, 3, v3
	s_wait_kmcnt 0x0
	v_mad_u32 v24, s2, s0, v0
	s_clause 0x3
	global_load_b64 v[4:5], v24, s[4:5] scale_offset
	global_load_b64 v[6:7], v24, s[6:7] scale_offset
	global_load_b64 v[8:9], v24, s[8:9] scale_offset
	global_load_b64 v[10:11], v24, s[10:11] scale_offset
	s_wait_loadcnt 0x2
	ds_store_2addr_b64 v2, v[4:5], v[6:7] offset1:18
	s_wait_loadcnt 0x0
	ds_store_2addr_b64 v2, v[8:9], v[10:11] offset0:36 offset1:72
	s_wait_dscnt 0x0
	; wave barrier
	ds_load_2addr_b64 v[4:7], v2 offset1:18
	ds_load_2addr_b64 v[8:11], v1 offset1:18
	ds_load_2addr_b64 v[12:15], v2 offset0:36 offset1:72
	ds_load_2addr_b64 v[16:19], v3 offset0:1 offset1:19
	v_ashrrev_i32_e32 v25, 31, v24
	s_wait_dscnt 0x2
	v_div_scale_f64 v[20:21], null, v[10:11], v[10:11], v[4:5]
	s_wait_dscnt 0x0
	v_div_scale_f64 v[22:23], null, v[18:19], v[18:19], v[12:13]
	v_div_scale_f64 v[34:35], vcc_lo, v[4:5], v[10:11], v[4:5]
	s_delay_alu instid0(VALU_DEP_3) | instskip(NEXT) | instid1(VALU_DEP_2)
	v_rcp_f64_e32 v[26:27], v[20:21]
	v_rcp_f64_e32 v[28:29], v[22:23]
	s_delay_alu instid0(TRANS32_DEP_2) | instskip(NEXT) | instid1(TRANS32_DEP_1)
	v_fma_f64 v[30:31], -v[20:21], v[26:27], 1.0
	v_fma_f64 v[32:33], -v[22:23], v[28:29], 1.0
	s_delay_alu instid0(VALU_DEP_2) | instskip(NEXT) | instid1(VALU_DEP_2)
	v_fmac_f64_e32 v[26:27], v[26:27], v[30:31]
	v_fmac_f64_e32 v[28:29], v[28:29], v[32:33]
	s_delay_alu instid0(VALU_DEP_2) | instskip(NEXT) | instid1(VALU_DEP_2)
	v_fma_f64 v[30:31], -v[20:21], v[26:27], 1.0
	v_fma_f64 v[32:33], -v[22:23], v[28:29], 1.0
	s_delay_alu instid0(VALU_DEP_2) | instskip(SKIP_1) | instid1(VALU_DEP_3)
	v_fmac_f64_e32 v[26:27], v[26:27], v[30:31]
	v_div_scale_f64 v[30:31], s0, v[12:13], v[18:19], v[12:13]
	v_fmac_f64_e32 v[28:29], v[28:29], v[32:33]
	s_delay_alu instid0(VALU_DEP_3) | instskip(NEXT) | instid1(VALU_DEP_2)
	v_mul_f64_e32 v[32:33], v[34:35], v[26:27]
	v_mul_f64_e32 v[36:37], v[30:31], v[28:29]
	s_delay_alu instid0(VALU_DEP_2) | instskip(NEXT) | instid1(VALU_DEP_2)
	v_fma_f64 v[20:21], -v[20:21], v[32:33], v[34:35]
	v_fma_f64 v[22:23], -v[22:23], v[36:37], v[30:31]
	s_delay_alu instid0(VALU_DEP_2) | instskip(SKIP_1) | instid1(VALU_DEP_2)
	v_div_fmas_f64 v[20:21], v[20:21], v[26:27], v[32:33]
	s_mov_b32 vcc_lo, s0
	v_div_fmas_f64 v[26:27], v[22:23], v[28:29], v[36:37]
	s_delay_alu instid0(VALU_DEP_2) | instskip(SKIP_3) | instid1(VALU_DEP_2)
	v_div_fixup_f64 v[10:11], v[20:21], v[10:11], v[4:5]
	ds_load_2addr_b64 v[20:23], v1 offset0:36 offset1:72
	v_sub_nc_u32_e64 v1, v0, 2 clamp
	v_div_fixup_f64 v[12:13], v[26:27], v[18:19], v[12:13]
	v_lshlrev_b32_e32 v1, 3, v1
	s_wait_dscnt 0x0
	v_fma_f64 v[18:19], -v[10:11], v[20:21], v[6:7]
	v_fma_f64 v[14:15], -v[10:11], v[22:23], v[14:15]
	ds_load_2addr_b64 v[4:7], v3 offset0:37 offset1:73
	v_mul_f64_e64 v[8:9], v[10:11], -v[8:9]
	s_wait_dscnt 0x0
	; wave barrier
	v_min_u32_e32 v3, 13, v0
	s_delay_alu instid0(VALU_DEP_1)
	v_dual_mul_f64 v[4:5], v[12:13], -v[4:5] :: v_dual_lshlrev_b32 v3, 3, v3
	v_fma_f64 v[10:11], -v[12:13], v[16:17], v[18:19]
	v_fma_f64 v[6:7], -v[12:13], v[6:7], v[14:15]
	ds_store_2addr_b64 v2, v[8:9], v[10:11] offset1:18
	ds_store_2addr_b64 v2, v[4:5], v[6:7] offset0:36 offset1:72
	s_wait_dscnt 0x0
	; wave barrier
	ds_load_2addr_b64 v[4:7], v2 offset1:18
	ds_load_2addr_b64 v[8:11], v1 offset1:18
	ds_load_2addr_b64 v[12:15], v2 offset0:36 offset1:72
	ds_load_2addr_b64 v[16:19], v3 offset0:2 offset1:20
	s_wait_dscnt 0x2
	v_div_scale_f64 v[20:21], null, v[10:11], v[10:11], v[4:5]
	s_wait_dscnt 0x0
	v_div_scale_f64 v[22:23], null, v[18:19], v[18:19], v[12:13]
	v_div_scale_f64 v[34:35], vcc_lo, v[4:5], v[10:11], v[4:5]
	s_delay_alu instid0(VALU_DEP_3) | instskip(NEXT) | instid1(VALU_DEP_2)
	v_rcp_f64_e32 v[26:27], v[20:21]
	v_rcp_f64_e32 v[28:29], v[22:23]
	s_delay_alu instid0(TRANS32_DEP_2) | instskip(NEXT) | instid1(TRANS32_DEP_1)
	v_fma_f64 v[30:31], -v[20:21], v[26:27], 1.0
	v_fma_f64 v[32:33], -v[22:23], v[28:29], 1.0
	s_delay_alu instid0(VALU_DEP_2) | instskip(NEXT) | instid1(VALU_DEP_2)
	v_fmac_f64_e32 v[26:27], v[26:27], v[30:31]
	v_fmac_f64_e32 v[28:29], v[28:29], v[32:33]
	s_delay_alu instid0(VALU_DEP_2) | instskip(NEXT) | instid1(VALU_DEP_2)
	v_fma_f64 v[30:31], -v[20:21], v[26:27], 1.0
	v_fma_f64 v[32:33], -v[22:23], v[28:29], 1.0
	s_delay_alu instid0(VALU_DEP_2) | instskip(SKIP_1) | instid1(VALU_DEP_3)
	v_fmac_f64_e32 v[26:27], v[26:27], v[30:31]
	v_div_scale_f64 v[30:31], s0, v[12:13], v[18:19], v[12:13]
	v_fmac_f64_e32 v[28:29], v[28:29], v[32:33]
	s_delay_alu instid0(VALU_DEP_3) | instskip(NEXT) | instid1(VALU_DEP_2)
	v_mul_f64_e32 v[32:33], v[34:35], v[26:27]
	v_mul_f64_e32 v[36:37], v[30:31], v[28:29]
	s_delay_alu instid0(VALU_DEP_2) | instskip(NEXT) | instid1(VALU_DEP_2)
	v_fma_f64 v[20:21], -v[20:21], v[32:33], v[34:35]
	v_fma_f64 v[22:23], -v[22:23], v[36:37], v[30:31]
	s_delay_alu instid0(VALU_DEP_2) | instskip(SKIP_1) | instid1(VALU_DEP_2)
	v_div_fmas_f64 v[20:21], v[20:21], v[26:27], v[32:33]
	s_mov_b32 vcc_lo, s0
	v_div_fmas_f64 v[26:27], v[22:23], v[28:29], v[36:37]
	s_delay_alu instid0(VALU_DEP_2) | instskip(SKIP_3) | instid1(VALU_DEP_2)
	v_div_fixup_f64 v[10:11], v[20:21], v[10:11], v[4:5]
	ds_load_2addr_b64 v[20:23], v1 offset0:36 offset1:72
	v_sub_nc_u32_e64 v1, v0, 4 clamp
	v_div_fixup_f64 v[12:13], v[26:27], v[18:19], v[12:13]
	v_lshlrev_b32_e32 v1, 3, v1
	s_wait_dscnt 0x0
	v_fma_f64 v[18:19], -v[10:11], v[20:21], v[6:7]
	v_fma_f64 v[14:15], -v[10:11], v[22:23], v[14:15]
	ds_load_2addr_b64 v[4:7], v3 offset0:38 offset1:74
	v_mul_f64_e64 v[8:9], v[10:11], -v[8:9]
	s_wait_dscnt 0x0
	; wave barrier
	v_min_u32_e32 v3, 11, v0
	s_delay_alu instid0(VALU_DEP_1)
	v_dual_mul_f64 v[4:5], v[12:13], -v[4:5] :: v_dual_lshlrev_b32 v3, 3, v3
	v_fma_f64 v[10:11], -v[12:13], v[16:17], v[18:19]
	v_fma_f64 v[6:7], -v[12:13], v[6:7], v[14:15]
	ds_store_2addr_b64 v2, v[8:9], v[10:11] offset1:18
	ds_store_2addr_b64 v2, v[4:5], v[6:7] offset0:36 offset1:72
	s_wait_dscnt 0x0
	; wave barrier
	ds_load_2addr_b64 v[4:7], v2 offset1:18
	ds_load_2addr_b64 v[8:11], v1 offset1:18
	ds_load_2addr_b64 v[12:15], v2 offset0:36 offset1:72
	ds_load_2addr_b64 v[16:19], v3 offset0:4 offset1:22
	s_wait_dscnt 0x2
	v_div_scale_f64 v[20:21], null, v[10:11], v[10:11], v[4:5]
	s_wait_dscnt 0x0
	v_div_scale_f64 v[22:23], null, v[18:19], v[18:19], v[12:13]
	v_div_scale_f64 v[34:35], vcc_lo, v[4:5], v[10:11], v[4:5]
	s_delay_alu instid0(VALU_DEP_3) | instskip(NEXT) | instid1(VALU_DEP_2)
	v_rcp_f64_e32 v[26:27], v[20:21]
	v_rcp_f64_e32 v[28:29], v[22:23]
	s_delay_alu instid0(TRANS32_DEP_2) | instskip(NEXT) | instid1(TRANS32_DEP_1)
	v_fma_f64 v[30:31], -v[20:21], v[26:27], 1.0
	v_fma_f64 v[32:33], -v[22:23], v[28:29], 1.0
	s_delay_alu instid0(VALU_DEP_2) | instskip(NEXT) | instid1(VALU_DEP_2)
	v_fmac_f64_e32 v[26:27], v[26:27], v[30:31]
	v_fmac_f64_e32 v[28:29], v[28:29], v[32:33]
	s_delay_alu instid0(VALU_DEP_2) | instskip(NEXT) | instid1(VALU_DEP_2)
	v_fma_f64 v[30:31], -v[20:21], v[26:27], 1.0
	v_fma_f64 v[32:33], -v[22:23], v[28:29], 1.0
	s_delay_alu instid0(VALU_DEP_2) | instskip(SKIP_1) | instid1(VALU_DEP_3)
	v_fmac_f64_e32 v[26:27], v[26:27], v[30:31]
	v_div_scale_f64 v[30:31], s0, v[12:13], v[18:19], v[12:13]
	v_fmac_f64_e32 v[28:29], v[28:29], v[32:33]
	s_delay_alu instid0(VALU_DEP_3) | instskip(NEXT) | instid1(VALU_DEP_2)
	v_mul_f64_e32 v[32:33], v[34:35], v[26:27]
	v_mul_f64_e32 v[36:37], v[30:31], v[28:29]
	s_delay_alu instid0(VALU_DEP_2) | instskip(NEXT) | instid1(VALU_DEP_2)
	v_fma_f64 v[20:21], -v[20:21], v[32:33], v[34:35]
	v_fma_f64 v[22:23], -v[22:23], v[36:37], v[30:31]
	s_delay_alu instid0(VALU_DEP_2) | instskip(SKIP_1) | instid1(VALU_DEP_2)
	v_div_fmas_f64 v[20:21], v[20:21], v[26:27], v[32:33]
	s_mov_b32 vcc_lo, s0
	v_div_fmas_f64 v[26:27], v[22:23], v[28:29], v[36:37]
	v_cmp_gt_u32_e32 vcc_lo, 8, v0
	s_delay_alu instid0(VALU_DEP_3)
	v_div_fixup_f64 v[10:11], v[20:21], v[10:11], v[4:5]
	ds_load_2addr_b64 v[20:23], v1 offset0:36 offset1:72
	v_lshl_add_u64 v[0:1], v[24:25], 3, s[10:11]
	v_div_fixup_f64 v[12:13], v[26:27], v[18:19], v[12:13]
	s_wait_dscnt 0x0
	v_fma_f64 v[18:19], -v[10:11], v[20:21], v[6:7]
	v_fma_f64 v[14:15], -v[10:11], v[22:23], v[14:15]
	ds_load_2addr_b64 v[4:7], v3 offset0:40 offset1:76
	v_mul_f64_e64 v[8:9], v[10:11], -v[8:9]
	s_wait_dscnt 0x0
	; wave barrier
	v_mul_f64_e64 v[4:5], v[12:13], -v[4:5]
	v_fma_f64 v[10:11], -v[12:13], v[16:17], v[18:19]
	v_fma_f64 v[6:7], -v[12:13], v[6:7], v[14:15]
	ds_store_2addr_b64 v2, v[8:9], v[10:11] offset1:18
	ds_store_2addr_b64 v2, v[4:5], v[6:7] offset0:36 offset1:72
	s_wait_dscnt 0x0
	; wave barrier
	s_and_saveexec_b32 s0, vcc_lo
	s_cbranch_execz .LBB24_2
; %bb.1:
	v_add_nc_u32_e32 v3, 0x120, v2
	ds_load_b64 v[12:13], v3
	ds_load_b64 v[14:15], v2 offset:64
	v_add_nc_u32_e32 v3, 0x90, v2
	ds_load_2addr_b64 v[4:7], v3 offset1:8
	v_add_nc_u32_e32 v3, 0x240, v2
	s_wait_dscnt 0x1
	v_mul_f64_e32 v[8:9], v[12:13], v[14:15]
	s_wait_dscnt 0x0
	s_delay_alu instid0(VALU_DEP_1) | instskip(NEXT) | instid1(VALU_DEP_1)
	v_fma_f64 v[16:17], v[6:7], v[4:5], -v[8:9]
	v_div_scale_f64 v[8:9], null, v[16:17], v[16:17], 1.0
	v_div_scale_f64 v[20:21], vcc_lo, 1.0, v[16:17], 1.0
	s_delay_alu instid0(VALU_DEP_2) | instskip(SKIP_1) | instid1(TRANS32_DEP_1)
	v_rcp_f64_e32 v[18:19], v[8:9]
	v_nop
	v_fma_f64 v[10:11], -v[8:9], v[18:19], 1.0
	s_delay_alu instid0(VALU_DEP_1) | instskip(NEXT) | instid1(VALU_DEP_1)
	v_fmac_f64_e32 v[18:19], v[18:19], v[10:11]
	v_fma_f64 v[10:11], -v[8:9], v[18:19], 1.0
	s_delay_alu instid0(VALU_DEP_1) | instskip(NEXT) | instid1(VALU_DEP_1)
	v_fmac_f64_e32 v[18:19], v[18:19], v[10:11]
	v_mul_f64_e32 v[22:23], v[20:21], v[18:19]
	s_delay_alu instid0(VALU_DEP_1)
	v_fma_f64 v[20:21], -v[8:9], v[22:23], v[20:21]
	ds_load_2addr_b64 v[8:11], v3 offset1:8
	s_wait_dscnt 0x0
	v_mul_f64_e32 v[12:13], v[12:13], v[10:11]
	v_mul_f64_e32 v[14:15], v[14:15], v[8:9]
	v_div_fmas_f64 v[18:19], v[20:21], v[18:19], v[22:23]
	s_delay_alu instid0(VALU_DEP_3) | instskip(NEXT) | instid1(VALU_DEP_3)
	v_fma_f64 v[6:7], v[6:7], v[8:9], -v[12:13]
	v_fma_f64 v[4:5], v[4:5], v[10:11], -v[14:15]
	s_delay_alu instid0(VALU_DEP_3) | instskip(NEXT) | instid1(VALU_DEP_1)
	v_div_fixup_f64 v[8:9], v[18:19], v[16:17], 1.0
	v_mul_f64_e32 v[6:7], v[8:9], v[6:7]
	s_delay_alu instid0(VALU_DEP_3)
	v_mul_f64_e32 v[4:5], v[8:9], v[4:5]
	ds_store_2addr_b64 v2, v[6:7], v[4:5] offset0:54 offset1:62
.LBB24_2:
	s_or_b32 exec_lo, exec_lo, s0
	s_wait_dscnt 0x0
	; wave barrier
	ds_load_b64 v[2:3], v2 offset:432
	s_wait_dscnt 0x0
	global_store_b64 v[0:1], v[2:3], off
	s_endpgm
	.section	.rodata,"a",@progbits
	.p2align	6, 0x0
	.amdhsa_kernel _ZN9rocsparseL49gtsv_nopivot_strided_batch_pcr_pow2_shared_kernelILj16EdEEviiiPKT0_S3_S3_PS1_
		.amdhsa_group_segment_fixed_size 712
		.amdhsa_private_segment_fixed_size 0
		.amdhsa_kernarg_size 48
		.amdhsa_user_sgpr_count 2
		.amdhsa_user_sgpr_dispatch_ptr 0
		.amdhsa_user_sgpr_queue_ptr 0
		.amdhsa_user_sgpr_kernarg_segment_ptr 1
		.amdhsa_user_sgpr_dispatch_id 0
		.amdhsa_user_sgpr_kernarg_preload_length 0
		.amdhsa_user_sgpr_kernarg_preload_offset 0
		.amdhsa_user_sgpr_private_segment_size 0
		.amdhsa_wavefront_size32 1
		.amdhsa_uses_dynamic_stack 0
		.amdhsa_enable_private_segment 0
		.amdhsa_system_sgpr_workgroup_id_x 1
		.amdhsa_system_sgpr_workgroup_id_y 0
		.amdhsa_system_sgpr_workgroup_id_z 0
		.amdhsa_system_sgpr_workgroup_info 0
		.amdhsa_system_vgpr_workitem_id 0
		.amdhsa_next_free_vgpr 38
		.amdhsa_next_free_sgpr 12
		.amdhsa_named_barrier_count 0
		.amdhsa_reserve_vcc 1
		.amdhsa_float_round_mode_32 0
		.amdhsa_float_round_mode_16_64 0
		.amdhsa_float_denorm_mode_32 3
		.amdhsa_float_denorm_mode_16_64 3
		.amdhsa_fp16_overflow 0
		.amdhsa_memory_ordered 1
		.amdhsa_forward_progress 1
		.amdhsa_inst_pref_size 12
		.amdhsa_round_robin_scheduling 0
		.amdhsa_exception_fp_ieee_invalid_op 0
		.amdhsa_exception_fp_denorm_src 0
		.amdhsa_exception_fp_ieee_div_zero 0
		.amdhsa_exception_fp_ieee_overflow 0
		.amdhsa_exception_fp_ieee_underflow 0
		.amdhsa_exception_fp_ieee_inexact 0
		.amdhsa_exception_int_div_zero 0
	.end_amdhsa_kernel
	.section	.text._ZN9rocsparseL49gtsv_nopivot_strided_batch_pcr_pow2_shared_kernelILj16EdEEviiiPKT0_S3_S3_PS1_,"axG",@progbits,_ZN9rocsparseL49gtsv_nopivot_strided_batch_pcr_pow2_shared_kernelILj16EdEEviiiPKT0_S3_S3_PS1_,comdat
.Lfunc_end24:
	.size	_ZN9rocsparseL49gtsv_nopivot_strided_batch_pcr_pow2_shared_kernelILj16EdEEviiiPKT0_S3_S3_PS1_, .Lfunc_end24-_ZN9rocsparseL49gtsv_nopivot_strided_batch_pcr_pow2_shared_kernelILj16EdEEviiiPKT0_S3_S3_PS1_
                                        ; -- End function
	.set _ZN9rocsparseL49gtsv_nopivot_strided_batch_pcr_pow2_shared_kernelILj16EdEEviiiPKT0_S3_S3_PS1_.num_vgpr, 38
	.set _ZN9rocsparseL49gtsv_nopivot_strided_batch_pcr_pow2_shared_kernelILj16EdEEviiiPKT0_S3_S3_PS1_.num_agpr, 0
	.set _ZN9rocsparseL49gtsv_nopivot_strided_batch_pcr_pow2_shared_kernelILj16EdEEviiiPKT0_S3_S3_PS1_.numbered_sgpr, 12
	.set _ZN9rocsparseL49gtsv_nopivot_strided_batch_pcr_pow2_shared_kernelILj16EdEEviiiPKT0_S3_S3_PS1_.num_named_barrier, 0
	.set _ZN9rocsparseL49gtsv_nopivot_strided_batch_pcr_pow2_shared_kernelILj16EdEEviiiPKT0_S3_S3_PS1_.private_seg_size, 0
	.set _ZN9rocsparseL49gtsv_nopivot_strided_batch_pcr_pow2_shared_kernelILj16EdEEviiiPKT0_S3_S3_PS1_.uses_vcc, 1
	.set _ZN9rocsparseL49gtsv_nopivot_strided_batch_pcr_pow2_shared_kernelILj16EdEEviiiPKT0_S3_S3_PS1_.uses_flat_scratch, 0
	.set _ZN9rocsparseL49gtsv_nopivot_strided_batch_pcr_pow2_shared_kernelILj16EdEEviiiPKT0_S3_S3_PS1_.has_dyn_sized_stack, 0
	.set _ZN9rocsparseL49gtsv_nopivot_strided_batch_pcr_pow2_shared_kernelILj16EdEEviiiPKT0_S3_S3_PS1_.has_recursion, 0
	.set _ZN9rocsparseL49gtsv_nopivot_strided_batch_pcr_pow2_shared_kernelILj16EdEEviiiPKT0_S3_S3_PS1_.has_indirect_call, 0
	.section	.AMDGPU.csdata,"",@progbits
; Kernel info:
; codeLenInByte = 1464
; TotalNumSgprs: 14
; NumVgprs: 38
; ScratchSize: 0
; MemoryBound: 1
; FloatMode: 240
; IeeeMode: 1
; LDSByteSize: 712 bytes/workgroup (compile time only)
; SGPRBlocks: 0
; VGPRBlocks: 2
; NumSGPRsForWavesPerEU: 14
; NumVGPRsForWavesPerEU: 38
; NamedBarCnt: 0
; Occupancy: 16
; WaveLimiterHint : 1
; COMPUTE_PGM_RSRC2:SCRATCH_EN: 0
; COMPUTE_PGM_RSRC2:USER_SGPR: 2
; COMPUTE_PGM_RSRC2:TRAP_HANDLER: 0
; COMPUTE_PGM_RSRC2:TGID_X_EN: 1
; COMPUTE_PGM_RSRC2:TGID_Y_EN: 0
; COMPUTE_PGM_RSRC2:TGID_Z_EN: 0
; COMPUTE_PGM_RSRC2:TIDIG_COMP_CNT: 0
	.section	.text._ZN9rocsparseL49gtsv_nopivot_strided_batch_pcr_pow2_shared_kernelILj32EdEEviiiPKT0_S3_S3_PS1_,"axG",@progbits,_ZN9rocsparseL49gtsv_nopivot_strided_batch_pcr_pow2_shared_kernelILj32EdEEviiiPKT0_S3_S3_PS1_,comdat
	.globl	_ZN9rocsparseL49gtsv_nopivot_strided_batch_pcr_pow2_shared_kernelILj32EdEEviiiPKT0_S3_S3_PS1_ ; -- Begin function _ZN9rocsparseL49gtsv_nopivot_strided_batch_pcr_pow2_shared_kernelILj32EdEEviiiPKT0_S3_S3_PS1_
	.p2align	8
	.type	_ZN9rocsparseL49gtsv_nopivot_strided_batch_pcr_pow2_shared_kernelILj32EdEEviiiPKT0_S3_S3_PS1_,@function
_ZN9rocsparseL49gtsv_nopivot_strided_batch_pcr_pow2_shared_kernelILj32EdEEviiiPKT0_S3_S3_PS1_: ; @_ZN9rocsparseL49gtsv_nopivot_strided_batch_pcr_pow2_shared_kernelILj32EdEEviiiPKT0_S3_S3_PS1_
; %bb.0:
	s_load_b32 s2, s[0:1], 0x8
	s_bfe_u32 s3, ttmp6, 0x4000c
	s_load_b256 s[4:11], s[0:1], 0x10
	s_add_co_i32 s3, s3, 1
	s_wait_xcnt 0x0
	s_and_b32 s0, ttmp6, 15
	s_mul_i32 s1, ttmp9, s3
	s_getreg_b32 s3, hwreg(HW_REG_IB_STS2, 6, 4)
	s_add_co_i32 s0, s0, s1
	s_cmp_eq_u32 s3, 0
	v_sub_nc_u32_e64 v1, v0, 1 clamp
	s_cselect_b32 s0, ttmp9, s0
	v_lshlrev_b32_e32 v2, 3, v0
	v_min_u32_e32 v3, 30, v0
	s_delay_alu instid0(VALU_DEP_1)
	v_dual_lshlrev_b32 v1, 3, v1 :: v_dual_lshlrev_b32 v3, 3, v3
	s_wait_kmcnt 0x0
	v_mad_u32 v24, s2, s0, v0
	s_clause 0x3
	global_load_b64 v[4:5], v24, s[4:5] scale_offset
	global_load_b64 v[6:7], v24, s[6:7] scale_offset
	;; [unrolled: 1-line block ×4, first 2 shown]
	s_wait_loadcnt 0x2
	ds_store_2addr_b64 v2, v[4:5], v[6:7] offset1:34
	s_wait_loadcnt 0x0
	ds_store_2addr_b64 v2, v[8:9], v[10:11] offset0:68 offset1:136
	s_wait_dscnt 0x0
	; wave barrier
	ds_load_2addr_b64 v[4:7], v2 offset1:34
	ds_load_2addr_b64 v[8:11], v1 offset1:34
	ds_load_2addr_b64 v[12:15], v2 offset0:68 offset1:136
	ds_load_2addr_b64 v[16:19], v3 offset0:1 offset1:35
	v_ashrrev_i32_e32 v25, 31, v24
	s_wait_dscnt 0x2
	v_div_scale_f64 v[20:21], null, v[10:11], v[10:11], v[4:5]
	s_wait_dscnt 0x0
	v_div_scale_f64 v[22:23], null, v[18:19], v[18:19], v[12:13]
	v_div_scale_f64 v[34:35], vcc_lo, v[4:5], v[10:11], v[4:5]
	s_delay_alu instid0(VALU_DEP_3) | instskip(NEXT) | instid1(VALU_DEP_2)
	v_rcp_f64_e32 v[26:27], v[20:21]
	v_rcp_f64_e32 v[28:29], v[22:23]
	s_delay_alu instid0(TRANS32_DEP_2) | instskip(NEXT) | instid1(TRANS32_DEP_1)
	v_fma_f64 v[30:31], -v[20:21], v[26:27], 1.0
	v_fma_f64 v[32:33], -v[22:23], v[28:29], 1.0
	s_delay_alu instid0(VALU_DEP_2) | instskip(NEXT) | instid1(VALU_DEP_2)
	v_fmac_f64_e32 v[26:27], v[26:27], v[30:31]
	v_fmac_f64_e32 v[28:29], v[28:29], v[32:33]
	s_delay_alu instid0(VALU_DEP_2) | instskip(NEXT) | instid1(VALU_DEP_2)
	v_fma_f64 v[30:31], -v[20:21], v[26:27], 1.0
	v_fma_f64 v[32:33], -v[22:23], v[28:29], 1.0
	s_delay_alu instid0(VALU_DEP_2) | instskip(SKIP_1) | instid1(VALU_DEP_3)
	v_fmac_f64_e32 v[26:27], v[26:27], v[30:31]
	v_div_scale_f64 v[30:31], s0, v[12:13], v[18:19], v[12:13]
	v_fmac_f64_e32 v[28:29], v[28:29], v[32:33]
	s_delay_alu instid0(VALU_DEP_3) | instskip(NEXT) | instid1(VALU_DEP_2)
	v_mul_f64_e32 v[32:33], v[34:35], v[26:27]
	v_mul_f64_e32 v[36:37], v[30:31], v[28:29]
	s_delay_alu instid0(VALU_DEP_2) | instskip(NEXT) | instid1(VALU_DEP_2)
	v_fma_f64 v[20:21], -v[20:21], v[32:33], v[34:35]
	v_fma_f64 v[22:23], -v[22:23], v[36:37], v[30:31]
	s_delay_alu instid0(VALU_DEP_2) | instskip(SKIP_1) | instid1(VALU_DEP_2)
	v_div_fmas_f64 v[20:21], v[20:21], v[26:27], v[32:33]
	s_mov_b32 vcc_lo, s0
	v_div_fmas_f64 v[26:27], v[22:23], v[28:29], v[36:37]
	s_delay_alu instid0(VALU_DEP_2) | instskip(SKIP_3) | instid1(VALU_DEP_2)
	v_div_fixup_f64 v[10:11], v[20:21], v[10:11], v[4:5]
	ds_load_2addr_b64 v[20:23], v1 offset0:68 offset1:136
	v_sub_nc_u32_e64 v1, v0, 2 clamp
	v_div_fixup_f64 v[12:13], v[26:27], v[18:19], v[12:13]
	v_lshlrev_b32_e32 v1, 3, v1
	s_wait_dscnt 0x0
	v_fma_f64 v[18:19], -v[10:11], v[20:21], v[6:7]
	v_fma_f64 v[14:15], -v[10:11], v[22:23], v[14:15]
	ds_load_2addr_b64 v[4:7], v3 offset0:69 offset1:137
	v_mul_f64_e64 v[8:9], v[10:11], -v[8:9]
	s_wait_dscnt 0x0
	; wave barrier
	v_min_u32_e32 v3, 29, v0
	s_delay_alu instid0(VALU_DEP_1)
	v_dual_mul_f64 v[4:5], v[12:13], -v[4:5] :: v_dual_lshlrev_b32 v3, 3, v3
	v_fma_f64 v[10:11], -v[12:13], v[16:17], v[18:19]
	v_fma_f64 v[6:7], -v[12:13], v[6:7], v[14:15]
	ds_store_2addr_b64 v2, v[8:9], v[10:11] offset1:34
	ds_store_2addr_b64 v2, v[4:5], v[6:7] offset0:68 offset1:136
	s_wait_dscnt 0x0
	; wave barrier
	ds_load_2addr_b64 v[4:7], v2 offset1:34
	ds_load_2addr_b64 v[8:11], v1 offset1:34
	ds_load_2addr_b64 v[12:15], v2 offset0:68 offset1:136
	ds_load_2addr_b64 v[16:19], v3 offset0:2 offset1:36
	s_wait_dscnt 0x2
	v_div_scale_f64 v[20:21], null, v[10:11], v[10:11], v[4:5]
	s_wait_dscnt 0x0
	v_div_scale_f64 v[22:23], null, v[18:19], v[18:19], v[12:13]
	v_div_scale_f64 v[34:35], vcc_lo, v[4:5], v[10:11], v[4:5]
	s_delay_alu instid0(VALU_DEP_3) | instskip(NEXT) | instid1(VALU_DEP_2)
	v_rcp_f64_e32 v[26:27], v[20:21]
	v_rcp_f64_e32 v[28:29], v[22:23]
	s_delay_alu instid0(TRANS32_DEP_2) | instskip(NEXT) | instid1(TRANS32_DEP_1)
	v_fma_f64 v[30:31], -v[20:21], v[26:27], 1.0
	v_fma_f64 v[32:33], -v[22:23], v[28:29], 1.0
	s_delay_alu instid0(VALU_DEP_2) | instskip(NEXT) | instid1(VALU_DEP_2)
	v_fmac_f64_e32 v[26:27], v[26:27], v[30:31]
	v_fmac_f64_e32 v[28:29], v[28:29], v[32:33]
	s_delay_alu instid0(VALU_DEP_2) | instskip(NEXT) | instid1(VALU_DEP_2)
	v_fma_f64 v[30:31], -v[20:21], v[26:27], 1.0
	v_fma_f64 v[32:33], -v[22:23], v[28:29], 1.0
	s_delay_alu instid0(VALU_DEP_2) | instskip(SKIP_1) | instid1(VALU_DEP_3)
	v_fmac_f64_e32 v[26:27], v[26:27], v[30:31]
	v_div_scale_f64 v[30:31], s0, v[12:13], v[18:19], v[12:13]
	v_fmac_f64_e32 v[28:29], v[28:29], v[32:33]
	s_delay_alu instid0(VALU_DEP_3) | instskip(NEXT) | instid1(VALU_DEP_2)
	v_mul_f64_e32 v[32:33], v[34:35], v[26:27]
	v_mul_f64_e32 v[36:37], v[30:31], v[28:29]
	s_delay_alu instid0(VALU_DEP_2) | instskip(NEXT) | instid1(VALU_DEP_2)
	v_fma_f64 v[20:21], -v[20:21], v[32:33], v[34:35]
	v_fma_f64 v[22:23], -v[22:23], v[36:37], v[30:31]
	s_delay_alu instid0(VALU_DEP_2) | instskip(SKIP_1) | instid1(VALU_DEP_2)
	v_div_fmas_f64 v[20:21], v[20:21], v[26:27], v[32:33]
	s_mov_b32 vcc_lo, s0
	v_div_fmas_f64 v[26:27], v[22:23], v[28:29], v[36:37]
	s_delay_alu instid0(VALU_DEP_2) | instskip(SKIP_3) | instid1(VALU_DEP_2)
	v_div_fixup_f64 v[10:11], v[20:21], v[10:11], v[4:5]
	ds_load_2addr_b64 v[20:23], v1 offset0:68 offset1:136
	v_sub_nc_u32_e64 v1, v0, 4 clamp
	v_div_fixup_f64 v[12:13], v[26:27], v[18:19], v[12:13]
	v_lshlrev_b32_e32 v1, 3, v1
	s_wait_dscnt 0x0
	v_fma_f64 v[18:19], -v[10:11], v[20:21], v[6:7]
	v_fma_f64 v[14:15], -v[10:11], v[22:23], v[14:15]
	ds_load_2addr_b64 v[4:7], v3 offset0:70 offset1:138
	v_mul_f64_e64 v[8:9], v[10:11], -v[8:9]
	s_wait_dscnt 0x0
	; wave barrier
	v_min_u32_e32 v3, 27, v0
	s_delay_alu instid0(VALU_DEP_1)
	v_dual_mul_f64 v[4:5], v[12:13], -v[4:5] :: v_dual_lshlrev_b32 v3, 3, v3
	v_fma_f64 v[10:11], -v[12:13], v[16:17], v[18:19]
	v_fma_f64 v[6:7], -v[12:13], v[6:7], v[14:15]
	ds_store_2addr_b64 v2, v[8:9], v[10:11] offset1:34
	ds_store_2addr_b64 v2, v[4:5], v[6:7] offset0:68 offset1:136
	s_wait_dscnt 0x0
	; wave barrier
	ds_load_2addr_b64 v[4:7], v2 offset1:34
	ds_load_2addr_b64 v[8:11], v1 offset1:34
	ds_load_2addr_b64 v[12:15], v2 offset0:68 offset1:136
	ds_load_2addr_b64 v[16:19], v3 offset0:4 offset1:38
	;; [unrolled: 57-line block ×3, first 2 shown]
	s_wait_dscnt 0x2
	v_div_scale_f64 v[20:21], null, v[10:11], v[10:11], v[4:5]
	s_wait_dscnt 0x0
	v_div_scale_f64 v[22:23], null, v[18:19], v[18:19], v[12:13]
	v_div_scale_f64 v[34:35], vcc_lo, v[4:5], v[10:11], v[4:5]
	s_delay_alu instid0(VALU_DEP_3) | instskip(NEXT) | instid1(VALU_DEP_2)
	v_rcp_f64_e32 v[26:27], v[20:21]
	v_rcp_f64_e32 v[28:29], v[22:23]
	s_delay_alu instid0(TRANS32_DEP_2) | instskip(NEXT) | instid1(TRANS32_DEP_1)
	v_fma_f64 v[30:31], -v[20:21], v[26:27], 1.0
	v_fma_f64 v[32:33], -v[22:23], v[28:29], 1.0
	s_delay_alu instid0(VALU_DEP_2) | instskip(NEXT) | instid1(VALU_DEP_2)
	v_fmac_f64_e32 v[26:27], v[26:27], v[30:31]
	v_fmac_f64_e32 v[28:29], v[28:29], v[32:33]
	s_delay_alu instid0(VALU_DEP_2) | instskip(NEXT) | instid1(VALU_DEP_2)
	v_fma_f64 v[30:31], -v[20:21], v[26:27], 1.0
	v_fma_f64 v[32:33], -v[22:23], v[28:29], 1.0
	s_delay_alu instid0(VALU_DEP_2) | instskip(SKIP_1) | instid1(VALU_DEP_3)
	v_fmac_f64_e32 v[26:27], v[26:27], v[30:31]
	v_div_scale_f64 v[30:31], s0, v[12:13], v[18:19], v[12:13]
	v_fmac_f64_e32 v[28:29], v[28:29], v[32:33]
	s_delay_alu instid0(VALU_DEP_3) | instskip(NEXT) | instid1(VALU_DEP_2)
	v_mul_f64_e32 v[32:33], v[34:35], v[26:27]
	v_mul_f64_e32 v[36:37], v[30:31], v[28:29]
	s_delay_alu instid0(VALU_DEP_2) | instskip(NEXT) | instid1(VALU_DEP_2)
	v_fma_f64 v[20:21], -v[20:21], v[32:33], v[34:35]
	v_fma_f64 v[22:23], -v[22:23], v[36:37], v[30:31]
	s_delay_alu instid0(VALU_DEP_2) | instskip(SKIP_1) | instid1(VALU_DEP_2)
	v_div_fmas_f64 v[20:21], v[20:21], v[26:27], v[32:33]
	s_mov_b32 vcc_lo, s0
	v_div_fmas_f64 v[26:27], v[22:23], v[28:29], v[36:37]
	v_cmp_gt_u32_e32 vcc_lo, 16, v0
	s_delay_alu instid0(VALU_DEP_3)
	v_div_fixup_f64 v[10:11], v[20:21], v[10:11], v[4:5]
	ds_load_2addr_b64 v[20:23], v1 offset0:68 offset1:136
	v_lshl_add_u64 v[0:1], v[24:25], 3, s[10:11]
	v_div_fixup_f64 v[12:13], v[26:27], v[18:19], v[12:13]
	s_wait_dscnt 0x0
	v_fma_f64 v[18:19], -v[10:11], v[20:21], v[6:7]
	v_fma_f64 v[14:15], -v[10:11], v[22:23], v[14:15]
	ds_load_2addr_b64 v[4:7], v3 offset0:76 offset1:144
	v_mul_f64_e64 v[8:9], v[10:11], -v[8:9]
	s_wait_dscnt 0x0
	; wave barrier
	v_mul_f64_e64 v[4:5], v[12:13], -v[4:5]
	v_fma_f64 v[10:11], -v[12:13], v[16:17], v[18:19]
	v_fma_f64 v[6:7], -v[12:13], v[6:7], v[14:15]
	ds_store_2addr_b64 v2, v[8:9], v[10:11] offset1:34
	ds_store_2addr_b64 v2, v[4:5], v[6:7] offset0:68 offset1:136
	s_wait_dscnt 0x0
	; wave barrier
	s_and_saveexec_b32 s0, vcc_lo
	s_cbranch_execz .LBB25_2
; %bb.1:
	v_add_nc_u32_e32 v3, 0x220, v2
	ds_load_b64 v[12:13], v3
	ds_load_b64 v[14:15], v2 offset:128
	v_add_nc_u32_e32 v3, 0x110, v2
	ds_load_2addr_b64 v[4:7], v3 offset1:16
	v_add_nc_u32_e32 v3, 0x440, v2
	s_wait_dscnt 0x1
	v_mul_f64_e32 v[8:9], v[12:13], v[14:15]
	s_wait_dscnt 0x0
	s_delay_alu instid0(VALU_DEP_1) | instskip(NEXT) | instid1(VALU_DEP_1)
	v_fma_f64 v[16:17], v[6:7], v[4:5], -v[8:9]
	v_div_scale_f64 v[8:9], null, v[16:17], v[16:17], 1.0
	v_div_scale_f64 v[20:21], vcc_lo, 1.0, v[16:17], 1.0
	s_delay_alu instid0(VALU_DEP_2) | instskip(SKIP_1) | instid1(TRANS32_DEP_1)
	v_rcp_f64_e32 v[18:19], v[8:9]
	v_nop
	v_fma_f64 v[10:11], -v[8:9], v[18:19], 1.0
	s_delay_alu instid0(VALU_DEP_1) | instskip(NEXT) | instid1(VALU_DEP_1)
	v_fmac_f64_e32 v[18:19], v[18:19], v[10:11]
	v_fma_f64 v[10:11], -v[8:9], v[18:19], 1.0
	s_delay_alu instid0(VALU_DEP_1) | instskip(NEXT) | instid1(VALU_DEP_1)
	v_fmac_f64_e32 v[18:19], v[18:19], v[10:11]
	v_mul_f64_e32 v[22:23], v[20:21], v[18:19]
	s_delay_alu instid0(VALU_DEP_1)
	v_fma_f64 v[20:21], -v[8:9], v[22:23], v[20:21]
	ds_load_2addr_b64 v[8:11], v3 offset1:16
	s_wait_dscnt 0x0
	v_mul_f64_e32 v[12:13], v[12:13], v[10:11]
	v_mul_f64_e32 v[14:15], v[14:15], v[8:9]
	v_div_fmas_f64 v[18:19], v[20:21], v[18:19], v[22:23]
	s_delay_alu instid0(VALU_DEP_3) | instskip(NEXT) | instid1(VALU_DEP_3)
	v_fma_f64 v[6:7], v[6:7], v[8:9], -v[12:13]
	v_fma_f64 v[4:5], v[4:5], v[10:11], -v[14:15]
	s_delay_alu instid0(VALU_DEP_3) | instskip(NEXT) | instid1(VALU_DEP_1)
	v_div_fixup_f64 v[8:9], v[18:19], v[16:17], 1.0
	v_mul_f64_e32 v[6:7], v[8:9], v[6:7]
	s_delay_alu instid0(VALU_DEP_3)
	v_mul_f64_e32 v[4:5], v[8:9], v[4:5]
	ds_store_2addr_b64 v2, v[6:7], v[4:5] offset0:102 offset1:118
.LBB25_2:
	s_or_b32 exec_lo, exec_lo, s0
	s_wait_dscnt 0x0
	; wave barrier
	ds_load_b64 v[2:3], v2 offset:816
	s_wait_dscnt 0x0
	global_store_b64 v[0:1], v[2:3], off
	s_endpgm
	.section	.rodata,"a",@progbits
	.p2align	6, 0x0
	.amdhsa_kernel _ZN9rocsparseL49gtsv_nopivot_strided_batch_pcr_pow2_shared_kernelILj32EdEEviiiPKT0_S3_S3_PS1_
		.amdhsa_group_segment_fixed_size 1352
		.amdhsa_private_segment_fixed_size 0
		.amdhsa_kernarg_size 48
		.amdhsa_user_sgpr_count 2
		.amdhsa_user_sgpr_dispatch_ptr 0
		.amdhsa_user_sgpr_queue_ptr 0
		.amdhsa_user_sgpr_kernarg_segment_ptr 1
		.amdhsa_user_sgpr_dispatch_id 0
		.amdhsa_user_sgpr_kernarg_preload_length 0
		.amdhsa_user_sgpr_kernarg_preload_offset 0
		.amdhsa_user_sgpr_private_segment_size 0
		.amdhsa_wavefront_size32 1
		.amdhsa_uses_dynamic_stack 0
		.amdhsa_enable_private_segment 0
		.amdhsa_system_sgpr_workgroup_id_x 1
		.amdhsa_system_sgpr_workgroup_id_y 0
		.amdhsa_system_sgpr_workgroup_id_z 0
		.amdhsa_system_sgpr_workgroup_info 0
		.amdhsa_system_vgpr_workitem_id 0
		.amdhsa_next_free_vgpr 38
		.amdhsa_next_free_sgpr 12
		.amdhsa_named_barrier_count 0
		.amdhsa_reserve_vcc 1
		.amdhsa_float_round_mode_32 0
		.amdhsa_float_round_mode_16_64 0
		.amdhsa_float_denorm_mode_32 3
		.amdhsa_float_denorm_mode_16_64 3
		.amdhsa_fp16_overflow 0
		.amdhsa_memory_ordered 1
		.amdhsa_forward_progress 1
		.amdhsa_inst_pref_size 15
		.amdhsa_round_robin_scheduling 0
		.amdhsa_exception_fp_ieee_invalid_op 0
		.amdhsa_exception_fp_denorm_src 0
		.amdhsa_exception_fp_ieee_div_zero 0
		.amdhsa_exception_fp_ieee_overflow 0
		.amdhsa_exception_fp_ieee_underflow 0
		.amdhsa_exception_fp_ieee_inexact 0
		.amdhsa_exception_int_div_zero 0
	.end_amdhsa_kernel
	.section	.text._ZN9rocsparseL49gtsv_nopivot_strided_batch_pcr_pow2_shared_kernelILj32EdEEviiiPKT0_S3_S3_PS1_,"axG",@progbits,_ZN9rocsparseL49gtsv_nopivot_strided_batch_pcr_pow2_shared_kernelILj32EdEEviiiPKT0_S3_S3_PS1_,comdat
.Lfunc_end25:
	.size	_ZN9rocsparseL49gtsv_nopivot_strided_batch_pcr_pow2_shared_kernelILj32EdEEviiiPKT0_S3_S3_PS1_, .Lfunc_end25-_ZN9rocsparseL49gtsv_nopivot_strided_batch_pcr_pow2_shared_kernelILj32EdEEviiiPKT0_S3_S3_PS1_
                                        ; -- End function
	.set _ZN9rocsparseL49gtsv_nopivot_strided_batch_pcr_pow2_shared_kernelILj32EdEEviiiPKT0_S3_S3_PS1_.num_vgpr, 38
	.set _ZN9rocsparseL49gtsv_nopivot_strided_batch_pcr_pow2_shared_kernelILj32EdEEviiiPKT0_S3_S3_PS1_.num_agpr, 0
	.set _ZN9rocsparseL49gtsv_nopivot_strided_batch_pcr_pow2_shared_kernelILj32EdEEviiiPKT0_S3_S3_PS1_.numbered_sgpr, 12
	.set _ZN9rocsparseL49gtsv_nopivot_strided_batch_pcr_pow2_shared_kernelILj32EdEEviiiPKT0_S3_S3_PS1_.num_named_barrier, 0
	.set _ZN9rocsparseL49gtsv_nopivot_strided_batch_pcr_pow2_shared_kernelILj32EdEEviiiPKT0_S3_S3_PS1_.private_seg_size, 0
	.set _ZN9rocsparseL49gtsv_nopivot_strided_batch_pcr_pow2_shared_kernelILj32EdEEviiiPKT0_S3_S3_PS1_.uses_vcc, 1
	.set _ZN9rocsparseL49gtsv_nopivot_strided_batch_pcr_pow2_shared_kernelILj32EdEEviiiPKT0_S3_S3_PS1_.uses_flat_scratch, 0
	.set _ZN9rocsparseL49gtsv_nopivot_strided_batch_pcr_pow2_shared_kernelILj32EdEEviiiPKT0_S3_S3_PS1_.has_dyn_sized_stack, 0
	.set _ZN9rocsparseL49gtsv_nopivot_strided_batch_pcr_pow2_shared_kernelILj32EdEEviiiPKT0_S3_S3_PS1_.has_recursion, 0
	.set _ZN9rocsparseL49gtsv_nopivot_strided_batch_pcr_pow2_shared_kernelILj32EdEEviiiPKT0_S3_S3_PS1_.has_indirect_call, 0
	.section	.AMDGPU.csdata,"",@progbits
; Kernel info:
; codeLenInByte = 1804
; TotalNumSgprs: 14
; NumVgprs: 38
; ScratchSize: 0
; MemoryBound: 1
; FloatMode: 240
; IeeeMode: 1
; LDSByteSize: 1352 bytes/workgroup (compile time only)
; SGPRBlocks: 0
; VGPRBlocks: 2
; NumSGPRsForWavesPerEU: 14
; NumVGPRsForWavesPerEU: 38
; NamedBarCnt: 0
; Occupancy: 16
; WaveLimiterHint : 1
; COMPUTE_PGM_RSRC2:SCRATCH_EN: 0
; COMPUTE_PGM_RSRC2:USER_SGPR: 2
; COMPUTE_PGM_RSRC2:TRAP_HANDLER: 0
; COMPUTE_PGM_RSRC2:TGID_X_EN: 1
; COMPUTE_PGM_RSRC2:TGID_Y_EN: 0
; COMPUTE_PGM_RSRC2:TGID_Z_EN: 0
; COMPUTE_PGM_RSRC2:TIDIG_COMP_CNT: 0
	.section	.text._ZN9rocsparseL49gtsv_nopivot_strided_batch_pcr_pow2_shared_kernelILj64EdEEviiiPKT0_S3_S3_PS1_,"axG",@progbits,_ZN9rocsparseL49gtsv_nopivot_strided_batch_pcr_pow2_shared_kernelILj64EdEEviiiPKT0_S3_S3_PS1_,comdat
	.globl	_ZN9rocsparseL49gtsv_nopivot_strided_batch_pcr_pow2_shared_kernelILj64EdEEviiiPKT0_S3_S3_PS1_ ; -- Begin function _ZN9rocsparseL49gtsv_nopivot_strided_batch_pcr_pow2_shared_kernelILj64EdEEviiiPKT0_S3_S3_PS1_
	.p2align	8
	.type	_ZN9rocsparseL49gtsv_nopivot_strided_batch_pcr_pow2_shared_kernelILj64EdEEviiiPKT0_S3_S3_PS1_,@function
_ZN9rocsparseL49gtsv_nopivot_strided_batch_pcr_pow2_shared_kernelILj64EdEEviiiPKT0_S3_S3_PS1_: ; @_ZN9rocsparseL49gtsv_nopivot_strided_batch_pcr_pow2_shared_kernelILj64EdEEviiiPKT0_S3_S3_PS1_
; %bb.0:
	s_load_b32 s2, s[0:1], 0x8
	s_bfe_u32 s3, ttmp6, 0x4000c
	s_load_b256 s[4:11], s[0:1], 0x10
	s_add_co_i32 s3, s3, 1
	s_wait_xcnt 0x0
	s_and_b32 s0, ttmp6, 15
	s_mul_i32 s1, ttmp9, s3
	s_getreg_b32 s3, hwreg(HW_REG_IB_STS2, 6, 4)
	s_add_co_i32 s0, s0, s1
	s_cmp_eq_u32 s3, 0
	v_sub_nc_u32_e64 v1, v0, 1 clamp
	s_cselect_b32 s0, ttmp9, s0
	v_lshlrev_b32_e32 v2, 3, v0
	v_min_u32_e32 v12, 62, v0
	s_delay_alu instid0(VALU_DEP_3) | instskip(NEXT) | instid1(VALU_DEP_3)
	v_lshlrev_b32_e32 v1, 3, v1
	v_add_nc_u32_e32 v3, 0x400, v2
	s_wait_kmcnt 0x0
	v_mad_u32 v24, s2, s0, v0
	s_clause 0x3
	global_load_b64 v[4:5], v24, s[4:5] scale_offset
	global_load_b64 v[6:7], v24, s[6:7] scale_offset
	;; [unrolled: 1-line block ×4, first 2 shown]
	s_wait_loadcnt 0x2
	ds_store_2addr_b64 v2, v[4:5], v[6:7] offset1:66
	s_wait_loadcnt 0x0
	ds_store_2addr_b64 v3, v[8:9], v[10:11] offset0:4 offset1:136
	s_wait_dscnt 0x0
	s_barrier_signal -1
	s_barrier_wait -1
	ds_load_2addr_b64 v[4:7], v2 offset1:66
	ds_load_2addr_b64 v[8:11], v1 offset1:66
	v_add_nc_u32_e32 v1, 0x400, v1
	s_wait_dscnt 0x0
	v_div_scale_f64 v[20:21], null, v[10:11], v[10:11], v[4:5]
	v_div_scale_f64 v[34:35], vcc_lo, v[4:5], v[10:11], v[4:5]
	s_delay_alu instid0(VALU_DEP_2) | instskip(SKIP_1) | instid1(TRANS32_DEP_1)
	v_rcp_f64_e32 v[26:27], v[20:21]
	v_nop
	v_fma_f64 v[30:31], -v[20:21], v[26:27], 1.0
	s_delay_alu instid0(VALU_DEP_1) | instskip(NEXT) | instid1(VALU_DEP_1)
	v_fmac_f64_e32 v[26:27], v[26:27], v[30:31]
	v_fma_f64 v[30:31], -v[20:21], v[26:27], 1.0
	s_delay_alu instid0(VALU_DEP_1)
	v_fmac_f64_e32 v[26:27], v[26:27], v[30:31]
	v_lshlrev_b32_e32 v25, 3, v12
	ds_load_2addr_b64 v[12:15], v3 offset0:4 offset1:136
	ds_load_2addr_b64 v[16:19], v25 offset0:1 offset1:67
	s_wait_dscnt 0x0
	v_div_scale_f64 v[22:23], null, v[18:19], v[18:19], v[12:13]
	v_div_scale_f64 v[30:31], s0, v[12:13], v[18:19], v[12:13]
	s_delay_alu instid0(VALU_DEP_2) | instskip(SKIP_1) | instid1(TRANS32_DEP_1)
	v_rcp_f64_e32 v[28:29], v[22:23]
	v_nop
	v_fma_f64 v[32:33], -v[22:23], v[28:29], 1.0
	s_delay_alu instid0(VALU_DEP_1) | instskip(NEXT) | instid1(VALU_DEP_1)
	v_fmac_f64_e32 v[28:29], v[28:29], v[32:33]
	v_fma_f64 v[32:33], -v[22:23], v[28:29], 1.0
	s_delay_alu instid0(VALU_DEP_1) | instskip(SKIP_1) | instid1(VALU_DEP_2)
	v_fmac_f64_e32 v[28:29], v[28:29], v[32:33]
	v_mul_f64_e32 v[32:33], v[34:35], v[26:27]
	v_mul_f64_e32 v[36:37], v[30:31], v[28:29]
	s_delay_alu instid0(VALU_DEP_2) | instskip(NEXT) | instid1(VALU_DEP_2)
	v_fma_f64 v[20:21], -v[20:21], v[32:33], v[34:35]
	v_fma_f64 v[22:23], -v[22:23], v[36:37], v[30:31]
	s_delay_alu instid0(VALU_DEP_2) | instskip(SKIP_1) | instid1(VALU_DEP_2)
	v_div_fmas_f64 v[20:21], v[20:21], v[26:27], v[32:33]
	s_mov_b32 vcc_lo, s0
	v_div_fmas_f64 v[26:27], v[22:23], v[28:29], v[36:37]
	s_delay_alu instid0(VALU_DEP_2)
	v_div_fixup_f64 v[10:11], v[20:21], v[10:11], v[4:5]
	ds_load_2addr_b64 v[20:23], v1 offset0:4 offset1:136
	v_add_nc_u32_e32 v1, 0x400, v25
	v_div_fixup_f64 v[12:13], v[26:27], v[18:19], v[12:13]
	s_wait_dscnt 0x0
	v_fma_f64 v[18:19], -v[10:11], v[20:21], v[6:7]
	ds_load_2addr_b64 v[4:7], v1 offset0:5 offset1:137
	v_sub_nc_u32_e64 v1, v0, 2 clamp
	v_fma_f64 v[14:15], -v[10:11], v[22:23], v[14:15]
	v_mul_f64_e64 v[8:9], v[10:11], -v[8:9]
	s_wait_dscnt 0x0
	s_barrier_signal -1
	v_lshlrev_b32_e32 v1, 3, v1
	s_barrier_wait -1
	v_mul_f64_e64 v[4:5], v[12:13], -v[4:5]
	v_fma_f64 v[10:11], -v[12:13], v[16:17], v[18:19]
	v_fma_f64 v[6:7], -v[12:13], v[6:7], v[14:15]
	v_min_u32_e32 v12, 61, v0
	s_delay_alu instid0(VALU_DEP_1)
	v_lshlrev_b32_e32 v25, 3, v12
	ds_store_2addr_b64 v2, v[8:9], v[10:11] offset1:66
	ds_store_2addr_b64 v3, v[4:5], v[6:7] offset0:4 offset1:136
	s_wait_dscnt 0x0
	s_barrier_signal -1
	s_barrier_wait -1
	ds_load_2addr_b64 v[4:7], v2 offset1:66
	ds_load_2addr_b64 v[8:11], v1 offset1:66
	ds_load_2addr_b64 v[12:15], v3 offset0:4 offset1:136
	ds_load_2addr_b64 v[16:19], v25 offset0:2 offset1:68
	v_add_nc_u32_e32 v1, 0x400, v1
	s_wait_dscnt 0x2
	v_div_scale_f64 v[20:21], null, v[10:11], v[10:11], v[4:5]
	s_wait_dscnt 0x0
	v_div_scale_f64 v[22:23], null, v[18:19], v[18:19], v[12:13]
	v_div_scale_f64 v[34:35], vcc_lo, v[4:5], v[10:11], v[4:5]
	s_delay_alu instid0(VALU_DEP_3) | instskip(NEXT) | instid1(VALU_DEP_2)
	v_rcp_f64_e32 v[26:27], v[20:21]
	v_rcp_f64_e32 v[28:29], v[22:23]
	s_delay_alu instid0(TRANS32_DEP_2) | instskip(NEXT) | instid1(TRANS32_DEP_1)
	v_fma_f64 v[30:31], -v[20:21], v[26:27], 1.0
	v_fma_f64 v[32:33], -v[22:23], v[28:29], 1.0
	s_delay_alu instid0(VALU_DEP_2) | instskip(NEXT) | instid1(VALU_DEP_2)
	v_fmac_f64_e32 v[26:27], v[26:27], v[30:31]
	v_fmac_f64_e32 v[28:29], v[28:29], v[32:33]
	s_delay_alu instid0(VALU_DEP_2) | instskip(NEXT) | instid1(VALU_DEP_2)
	v_fma_f64 v[30:31], -v[20:21], v[26:27], 1.0
	v_fma_f64 v[32:33], -v[22:23], v[28:29], 1.0
	s_delay_alu instid0(VALU_DEP_2) | instskip(SKIP_1) | instid1(VALU_DEP_3)
	v_fmac_f64_e32 v[26:27], v[26:27], v[30:31]
	v_div_scale_f64 v[30:31], s0, v[12:13], v[18:19], v[12:13]
	v_fmac_f64_e32 v[28:29], v[28:29], v[32:33]
	s_delay_alu instid0(VALU_DEP_3) | instskip(NEXT) | instid1(VALU_DEP_2)
	v_mul_f64_e32 v[32:33], v[34:35], v[26:27]
	v_mul_f64_e32 v[36:37], v[30:31], v[28:29]
	s_delay_alu instid0(VALU_DEP_2) | instskip(NEXT) | instid1(VALU_DEP_2)
	v_fma_f64 v[20:21], -v[20:21], v[32:33], v[34:35]
	v_fma_f64 v[22:23], -v[22:23], v[36:37], v[30:31]
	s_delay_alu instid0(VALU_DEP_2) | instskip(SKIP_1) | instid1(VALU_DEP_2)
	v_div_fmas_f64 v[20:21], v[20:21], v[26:27], v[32:33]
	s_mov_b32 vcc_lo, s0
	v_div_fmas_f64 v[26:27], v[22:23], v[28:29], v[36:37]
	s_delay_alu instid0(VALU_DEP_2)
	v_div_fixup_f64 v[10:11], v[20:21], v[10:11], v[4:5]
	ds_load_2addr_b64 v[20:23], v1 offset0:4 offset1:136
	v_add_nc_u32_e32 v1, 0x400, v25
	v_div_fixup_f64 v[12:13], v[26:27], v[18:19], v[12:13]
	s_wait_dscnt 0x0
	v_fma_f64 v[18:19], -v[10:11], v[20:21], v[6:7]
	v_fma_f64 v[14:15], -v[10:11], v[22:23], v[14:15]
	ds_load_2addr_b64 v[4:7], v1 offset0:6 offset1:138
	v_mul_f64_e64 v[8:9], v[10:11], -v[8:9]
	v_sub_nc_u32_e64 v1, v0, 4 clamp
	s_wait_dscnt 0x0
	s_barrier_signal -1
	s_barrier_wait -1
	s_delay_alu instid0(VALU_DEP_1)
	v_lshlrev_b32_e32 v1, 3, v1
	v_mul_f64_e64 v[4:5], v[12:13], -v[4:5]
	v_fma_f64 v[10:11], -v[12:13], v[16:17], v[18:19]
	v_fma_f64 v[6:7], -v[12:13], v[6:7], v[14:15]
	v_min_u32_e32 v12, 59, v0
	ds_store_2addr_b64 v2, v[8:9], v[10:11] offset1:66
	ds_store_2addr_b64 v3, v[4:5], v[6:7] offset0:4 offset1:136
	s_wait_dscnt 0x0
	s_barrier_signal -1
	s_barrier_wait -1
	ds_load_2addr_b64 v[4:7], v2 offset1:66
	ds_load_2addr_b64 v[8:11], v1 offset1:66
	v_lshlrev_b32_e32 v25, 3, v12
	ds_load_2addr_b64 v[12:15], v3 offset0:4 offset1:136
	ds_load_2addr_b64 v[16:19], v25 offset0:4 offset1:70
	v_add_nc_u32_e32 v1, 0x400, v1
	s_wait_dscnt 0x2
	v_div_scale_f64 v[20:21], null, v[10:11], v[10:11], v[4:5]
	v_div_scale_f64 v[34:35], vcc_lo, v[4:5], v[10:11], v[4:5]
	s_wait_dscnt 0x0
	v_div_scale_f64 v[22:23], null, v[18:19], v[18:19], v[12:13]
	s_delay_alu instid0(VALU_DEP_3) | instskip(NEXT) | instid1(VALU_DEP_1)
	v_rcp_f64_e32 v[26:27], v[20:21]
	v_rcp_f64_e32 v[28:29], v[22:23]
	s_delay_alu instid0(TRANS32_DEP_2) | instskip(NEXT) | instid1(TRANS32_DEP_1)
	v_fma_f64 v[30:31], -v[20:21], v[26:27], 1.0
	v_fma_f64 v[32:33], -v[22:23], v[28:29], 1.0
	s_delay_alu instid0(VALU_DEP_2) | instskip(NEXT) | instid1(VALU_DEP_2)
	v_fmac_f64_e32 v[26:27], v[26:27], v[30:31]
	v_fmac_f64_e32 v[28:29], v[28:29], v[32:33]
	s_delay_alu instid0(VALU_DEP_2) | instskip(NEXT) | instid1(VALU_DEP_2)
	v_fma_f64 v[30:31], -v[20:21], v[26:27], 1.0
	v_fma_f64 v[32:33], -v[22:23], v[28:29], 1.0
	s_delay_alu instid0(VALU_DEP_2) | instskip(SKIP_1) | instid1(VALU_DEP_3)
	v_fmac_f64_e32 v[26:27], v[26:27], v[30:31]
	v_div_scale_f64 v[30:31], s0, v[12:13], v[18:19], v[12:13]
	v_fmac_f64_e32 v[28:29], v[28:29], v[32:33]
	s_delay_alu instid0(VALU_DEP_3) | instskip(NEXT) | instid1(VALU_DEP_2)
	v_mul_f64_e32 v[32:33], v[34:35], v[26:27]
	v_mul_f64_e32 v[36:37], v[30:31], v[28:29]
	s_delay_alu instid0(VALU_DEP_2) | instskip(NEXT) | instid1(VALU_DEP_2)
	v_fma_f64 v[20:21], -v[20:21], v[32:33], v[34:35]
	v_fma_f64 v[22:23], -v[22:23], v[36:37], v[30:31]
	s_delay_alu instid0(VALU_DEP_2) | instskip(SKIP_1) | instid1(VALU_DEP_2)
	v_div_fmas_f64 v[20:21], v[20:21], v[26:27], v[32:33]
	s_mov_b32 vcc_lo, s0
	v_div_fmas_f64 v[26:27], v[22:23], v[28:29], v[36:37]
	s_delay_alu instid0(VALU_DEP_2)
	v_div_fixup_f64 v[10:11], v[20:21], v[10:11], v[4:5]
	ds_load_2addr_b64 v[20:23], v1 offset0:4 offset1:136
	v_add_nc_u32_e32 v1, 0x400, v25
	v_div_fixup_f64 v[12:13], v[26:27], v[18:19], v[12:13]
	s_wait_dscnt 0x0
	v_fma_f64 v[18:19], -v[10:11], v[20:21], v[6:7]
	v_fma_f64 v[14:15], -v[10:11], v[22:23], v[14:15]
	ds_load_2addr_b64 v[4:7], v1 offset0:8 offset1:140
	v_mul_f64_e64 v[8:9], v[10:11], -v[8:9]
	v_sub_nc_u32_e64 v1, v0, 8 clamp
	s_wait_dscnt 0x0
	s_barrier_signal -1
	s_barrier_wait -1
	s_delay_alu instid0(VALU_DEP_1)
	v_lshlrev_b32_e32 v1, 3, v1
	v_mul_f64_e64 v[4:5], v[12:13], -v[4:5]
	v_fma_f64 v[10:11], -v[12:13], v[16:17], v[18:19]
	v_fma_f64 v[6:7], -v[12:13], v[6:7], v[14:15]
	v_min_u32_e32 v12, 55, v0
	ds_store_2addr_b64 v2, v[8:9], v[10:11] offset1:66
	ds_store_2addr_b64 v3, v[4:5], v[6:7] offset0:4 offset1:136
	s_wait_dscnt 0x0
	s_barrier_signal -1
	s_barrier_wait -1
	ds_load_2addr_b64 v[4:7], v2 offset1:66
	ds_load_2addr_b64 v[8:11], v1 offset1:66
	v_lshlrev_b32_e32 v25, 3, v12
	ds_load_2addr_b64 v[12:15], v3 offset0:4 offset1:136
	ds_load_2addr_b64 v[16:19], v25 offset0:8 offset1:74
	v_add_nc_u32_e32 v1, 0x400, v1
	s_wait_dscnt 0x2
	v_div_scale_f64 v[20:21], null, v[10:11], v[10:11], v[4:5]
	v_div_scale_f64 v[34:35], vcc_lo, v[4:5], v[10:11], v[4:5]
	s_wait_dscnt 0x0
	v_div_scale_f64 v[22:23], null, v[18:19], v[18:19], v[12:13]
	s_delay_alu instid0(VALU_DEP_3) | instskip(NEXT) | instid1(VALU_DEP_1)
	;; [unrolled: 62-line block ×3, first 2 shown]
	v_rcp_f64_e32 v[26:27], v[20:21]
	v_rcp_f64_e32 v[28:29], v[22:23]
	s_delay_alu instid0(TRANS32_DEP_2) | instskip(NEXT) | instid1(TRANS32_DEP_1)
	v_fma_f64 v[30:31], -v[20:21], v[26:27], 1.0
	v_fma_f64 v[32:33], -v[22:23], v[28:29], 1.0
	s_delay_alu instid0(VALU_DEP_2) | instskip(NEXT) | instid1(VALU_DEP_2)
	v_fmac_f64_e32 v[26:27], v[26:27], v[30:31]
	v_fmac_f64_e32 v[28:29], v[28:29], v[32:33]
	s_delay_alu instid0(VALU_DEP_2) | instskip(NEXT) | instid1(VALU_DEP_2)
	v_fma_f64 v[30:31], -v[20:21], v[26:27], 1.0
	v_fma_f64 v[32:33], -v[22:23], v[28:29], 1.0
	s_delay_alu instid0(VALU_DEP_2) | instskip(SKIP_1) | instid1(VALU_DEP_3)
	v_fmac_f64_e32 v[26:27], v[26:27], v[30:31]
	v_div_scale_f64 v[30:31], s0, v[12:13], v[18:19], v[12:13]
	v_fmac_f64_e32 v[28:29], v[28:29], v[32:33]
	s_delay_alu instid0(VALU_DEP_3) | instskip(NEXT) | instid1(VALU_DEP_2)
	v_mul_f64_e32 v[32:33], v[34:35], v[26:27]
	v_mul_f64_e32 v[36:37], v[30:31], v[28:29]
	s_delay_alu instid0(VALU_DEP_2) | instskip(NEXT) | instid1(VALU_DEP_2)
	v_fma_f64 v[20:21], -v[20:21], v[32:33], v[34:35]
	v_fma_f64 v[22:23], -v[22:23], v[36:37], v[30:31]
	s_delay_alu instid0(VALU_DEP_2) | instskip(SKIP_1) | instid1(VALU_DEP_2)
	v_div_fmas_f64 v[20:21], v[20:21], v[26:27], v[32:33]
	s_mov_b32 vcc_lo, s0
	v_div_fmas_f64 v[26:27], v[22:23], v[28:29], v[36:37]
	v_cmp_gt_u32_e32 vcc_lo, 32, v0
	s_delay_alu instid0(VALU_DEP_3)
	v_div_fixup_f64 v[10:11], v[20:21], v[10:11], v[4:5]
	ds_load_2addr_b64 v[20:23], v1 offset0:4 offset1:136
	v_add_nc_u32_e32 v1, 0x400, v25
	v_ashrrev_i32_e32 v25, 31, v24
	v_div_fixup_f64 v[12:13], v[26:27], v[18:19], v[12:13]
	s_wait_dscnt 0x0
	v_fma_f64 v[18:19], -v[10:11], v[20:21], v[6:7]
	v_fma_f64 v[14:15], -v[10:11], v[22:23], v[14:15]
	ds_load_2addr_b64 v[4:7], v1 offset0:20 offset1:152
	v_mul_f64_e64 v[8:9], v[10:11], -v[8:9]
	v_lshl_add_u64 v[0:1], v[24:25], 3, s[10:11]
	s_wait_dscnt 0x0
	s_barrier_signal -1
	s_barrier_wait -1
	v_mul_f64_e64 v[4:5], v[12:13], -v[4:5]
	v_fma_f64 v[10:11], -v[12:13], v[16:17], v[18:19]
	v_fma_f64 v[6:7], -v[12:13], v[6:7], v[14:15]
	ds_store_2addr_b64 v2, v[8:9], v[10:11] offset1:66
	ds_store_2addr_b64 v3, v[4:5], v[6:7] offset0:4 offset1:136
	s_wait_dscnt 0x0
	s_barrier_signal -1
	s_barrier_wait -1
	s_and_saveexec_b32 s0, vcc_lo
	s_cbranch_execz .LBB26_2
; %bb.1:
	v_add_nc_u32_e32 v3, 0x420, v2
	ds_load_b64 v[12:13], v3
	ds_load_b64 v[14:15], v2 offset:256
	v_add_nc_u32_e32 v3, 0x210, v2
	ds_load_2addr_b64 v[4:7], v3 offset1:32
	v_add_nc_u32_e32 v3, 0x840, v2
	s_wait_dscnt 0x1
	v_mul_f64_e32 v[8:9], v[12:13], v[14:15]
	s_wait_dscnt 0x0
	s_delay_alu instid0(VALU_DEP_1) | instskip(NEXT) | instid1(VALU_DEP_1)
	v_fma_f64 v[16:17], v[6:7], v[4:5], -v[8:9]
	v_div_scale_f64 v[8:9], null, v[16:17], v[16:17], 1.0
	v_div_scale_f64 v[20:21], vcc_lo, 1.0, v[16:17], 1.0
	s_delay_alu instid0(VALU_DEP_2) | instskip(SKIP_1) | instid1(TRANS32_DEP_1)
	v_rcp_f64_e32 v[18:19], v[8:9]
	v_nop
	v_fma_f64 v[10:11], -v[8:9], v[18:19], 1.0
	s_delay_alu instid0(VALU_DEP_1) | instskip(NEXT) | instid1(VALU_DEP_1)
	v_fmac_f64_e32 v[18:19], v[18:19], v[10:11]
	v_fma_f64 v[10:11], -v[8:9], v[18:19], 1.0
	s_delay_alu instid0(VALU_DEP_1) | instskip(NEXT) | instid1(VALU_DEP_1)
	v_fmac_f64_e32 v[18:19], v[18:19], v[10:11]
	v_mul_f64_e32 v[22:23], v[20:21], v[18:19]
	s_delay_alu instid0(VALU_DEP_1)
	v_fma_f64 v[20:21], -v[8:9], v[22:23], v[20:21]
	ds_load_2addr_b64 v[8:11], v3 offset1:32
	s_wait_dscnt 0x0
	v_mul_f64_e32 v[12:13], v[12:13], v[10:11]
	v_mul_f64_e32 v[14:15], v[14:15], v[8:9]
	v_div_fmas_f64 v[18:19], v[20:21], v[18:19], v[22:23]
	s_delay_alu instid0(VALU_DEP_3) | instskip(NEXT) | instid1(VALU_DEP_3)
	v_fma_f64 v[6:7], v[6:7], v[8:9], -v[12:13]
	v_fma_f64 v[4:5], v[4:5], v[10:11], -v[14:15]
	s_delay_alu instid0(VALU_DEP_3) | instskip(NEXT) | instid1(VALU_DEP_1)
	v_div_fixup_f64 v[8:9], v[18:19], v[16:17], 1.0
	v_mul_f64_e32 v[6:7], v[8:9], v[6:7]
	s_delay_alu instid0(VALU_DEP_3)
	v_mul_f64_e32 v[4:5], v[8:9], v[4:5]
	ds_store_2addr_b64 v2, v[6:7], v[4:5] offset0:198 offset1:230
.LBB26_2:
	s_or_b32 exec_lo, exec_lo, s0
	s_wait_dscnt 0x0
	s_barrier_signal -1
	s_barrier_wait -1
	ds_load_b64 v[2:3], v2 offset:1584
	s_wait_dscnt 0x0
	global_store_b64 v[0:1], v[2:3], off
	s_endpgm
	.section	.rodata,"a",@progbits
	.p2align	6, 0x0
	.amdhsa_kernel _ZN9rocsparseL49gtsv_nopivot_strided_batch_pcr_pow2_shared_kernelILj64EdEEviiiPKT0_S3_S3_PS1_
		.amdhsa_group_segment_fixed_size 2632
		.amdhsa_private_segment_fixed_size 0
		.amdhsa_kernarg_size 48
		.amdhsa_user_sgpr_count 2
		.amdhsa_user_sgpr_dispatch_ptr 0
		.amdhsa_user_sgpr_queue_ptr 0
		.amdhsa_user_sgpr_kernarg_segment_ptr 1
		.amdhsa_user_sgpr_dispatch_id 0
		.amdhsa_user_sgpr_kernarg_preload_length 0
		.amdhsa_user_sgpr_kernarg_preload_offset 0
		.amdhsa_user_sgpr_private_segment_size 0
		.amdhsa_wavefront_size32 1
		.amdhsa_uses_dynamic_stack 0
		.amdhsa_enable_private_segment 0
		.amdhsa_system_sgpr_workgroup_id_x 1
		.amdhsa_system_sgpr_workgroup_id_y 0
		.amdhsa_system_sgpr_workgroup_id_z 0
		.amdhsa_system_sgpr_workgroup_info 0
		.amdhsa_system_vgpr_workitem_id 0
		.amdhsa_next_free_vgpr 38
		.amdhsa_next_free_sgpr 12
		.amdhsa_named_barrier_count 0
		.amdhsa_reserve_vcc 1
		.amdhsa_float_round_mode_32 0
		.amdhsa_float_round_mode_16_64 0
		.amdhsa_float_denorm_mode_32 3
		.amdhsa_float_denorm_mode_16_64 3
		.amdhsa_fp16_overflow 0
		.amdhsa_memory_ordered 1
		.amdhsa_forward_progress 1
		.amdhsa_inst_pref_size 19
		.amdhsa_round_robin_scheduling 0
		.amdhsa_exception_fp_ieee_invalid_op 0
		.amdhsa_exception_fp_denorm_src 0
		.amdhsa_exception_fp_ieee_div_zero 0
		.amdhsa_exception_fp_ieee_overflow 0
		.amdhsa_exception_fp_ieee_underflow 0
		.amdhsa_exception_fp_ieee_inexact 0
		.amdhsa_exception_int_div_zero 0
	.end_amdhsa_kernel
	.section	.text._ZN9rocsparseL49gtsv_nopivot_strided_batch_pcr_pow2_shared_kernelILj64EdEEviiiPKT0_S3_S3_PS1_,"axG",@progbits,_ZN9rocsparseL49gtsv_nopivot_strided_batch_pcr_pow2_shared_kernelILj64EdEEviiiPKT0_S3_S3_PS1_,comdat
.Lfunc_end26:
	.size	_ZN9rocsparseL49gtsv_nopivot_strided_batch_pcr_pow2_shared_kernelILj64EdEEviiiPKT0_S3_S3_PS1_, .Lfunc_end26-_ZN9rocsparseL49gtsv_nopivot_strided_batch_pcr_pow2_shared_kernelILj64EdEEviiiPKT0_S3_S3_PS1_
                                        ; -- End function
	.set _ZN9rocsparseL49gtsv_nopivot_strided_batch_pcr_pow2_shared_kernelILj64EdEEviiiPKT0_S3_S3_PS1_.num_vgpr, 38
	.set _ZN9rocsparseL49gtsv_nopivot_strided_batch_pcr_pow2_shared_kernelILj64EdEEviiiPKT0_S3_S3_PS1_.num_agpr, 0
	.set _ZN9rocsparseL49gtsv_nopivot_strided_batch_pcr_pow2_shared_kernelILj64EdEEviiiPKT0_S3_S3_PS1_.numbered_sgpr, 12
	.set _ZN9rocsparseL49gtsv_nopivot_strided_batch_pcr_pow2_shared_kernelILj64EdEEviiiPKT0_S3_S3_PS1_.num_named_barrier, 0
	.set _ZN9rocsparseL49gtsv_nopivot_strided_batch_pcr_pow2_shared_kernelILj64EdEEviiiPKT0_S3_S3_PS1_.private_seg_size, 0
	.set _ZN9rocsparseL49gtsv_nopivot_strided_batch_pcr_pow2_shared_kernelILj64EdEEviiiPKT0_S3_S3_PS1_.uses_vcc, 1
	.set _ZN9rocsparseL49gtsv_nopivot_strided_batch_pcr_pow2_shared_kernelILj64EdEEviiiPKT0_S3_S3_PS1_.uses_flat_scratch, 0
	.set _ZN9rocsparseL49gtsv_nopivot_strided_batch_pcr_pow2_shared_kernelILj64EdEEviiiPKT0_S3_S3_PS1_.has_dyn_sized_stack, 0
	.set _ZN9rocsparseL49gtsv_nopivot_strided_batch_pcr_pow2_shared_kernelILj64EdEEviiiPKT0_S3_S3_PS1_.has_recursion, 0
	.set _ZN9rocsparseL49gtsv_nopivot_strided_batch_pcr_pow2_shared_kernelILj64EdEEviiiPKT0_S3_S3_PS1_.has_indirect_call, 0
	.section	.AMDGPU.csdata,"",@progbits
; Kernel info:
; codeLenInByte = 2332
; TotalNumSgprs: 14
; NumVgprs: 38
; ScratchSize: 0
; MemoryBound: 1
; FloatMode: 240
; IeeeMode: 1
; LDSByteSize: 2632 bytes/workgroup (compile time only)
; SGPRBlocks: 0
; VGPRBlocks: 2
; NumSGPRsForWavesPerEU: 14
; NumVGPRsForWavesPerEU: 38
; NamedBarCnt: 0
; Occupancy: 16
; WaveLimiterHint : 1
; COMPUTE_PGM_RSRC2:SCRATCH_EN: 0
; COMPUTE_PGM_RSRC2:USER_SGPR: 2
; COMPUTE_PGM_RSRC2:TRAP_HANDLER: 0
; COMPUTE_PGM_RSRC2:TGID_X_EN: 1
; COMPUTE_PGM_RSRC2:TGID_Y_EN: 0
; COMPUTE_PGM_RSRC2:TGID_Z_EN: 0
; COMPUTE_PGM_RSRC2:TIDIG_COMP_CNT: 0
	.section	.text._ZN9rocsparseL51gtsv_nopivot_strided_batch_crpcr_pow2_shared_kernelILj64ELj64EdEEviiiPKT1_S3_S3_PS1_,"axG",@progbits,_ZN9rocsparseL51gtsv_nopivot_strided_batch_crpcr_pow2_shared_kernelILj64ELj64EdEEviiiPKT1_S3_S3_PS1_,comdat
	.globl	_ZN9rocsparseL51gtsv_nopivot_strided_batch_crpcr_pow2_shared_kernelILj64ELj64EdEEviiiPKT1_S3_S3_PS1_ ; -- Begin function _ZN9rocsparseL51gtsv_nopivot_strided_batch_crpcr_pow2_shared_kernelILj64ELj64EdEEviiiPKT1_S3_S3_PS1_
	.p2align	8
	.type	_ZN9rocsparseL51gtsv_nopivot_strided_batch_crpcr_pow2_shared_kernelILj64ELj64EdEEviiiPKT1_S3_S3_PS1_,@function
_ZN9rocsparseL51gtsv_nopivot_strided_batch_crpcr_pow2_shared_kernelILj64ELj64EdEEviiiPKT1_S3_S3_PS1_: ; @_ZN9rocsparseL51gtsv_nopivot_strided_batch_crpcr_pow2_shared_kernelILj64ELj64EdEEviiiPKT1_S3_S3_PS1_
; %bb.0:
	s_load_b32 s2, s[0:1], 0x8
	s_bfe_u32 s3, ttmp6, 0x4000c
	s_load_b256 s[4:11], s[0:1], 0x10
	s_add_co_i32 s3, s3, 1
	s_and_b32 s12, ttmp6, 15
	s_wait_xcnt 0x0
	s_mul_i32 s0, ttmp9, s3
	s_getreg_b32 s1, hwreg(HW_REG_IB_STS2, 6, 4)
	s_add_co_i32 s12, s12, s0
	s_cmp_eq_u32 s1, 0
	s_mov_b32 s1, exec_lo
	s_cselect_b32 s0, ttmp9, s12
	v_lshlrev_b32_e32 v1, 3, v0
	s_wait_kmcnt 0x0
	v_mad_u32 v2, s2, s0, v0
	v_cmp_gt_u32_e64 s0, 64, v0
	s_delay_alu instid0(VALU_DEP_2)
	v_add_nc_u32_e32 v4, 64, v2
	s_clause 0x3
	global_load_b64 v[6:7], v2, s[4:5] scale_offset
	global_load_b64 v[8:9], v2, s[6:7] scale_offset
	;; [unrolled: 1-line block ×4, first 2 shown]
	s_clause 0x3
	global_load_b64 v[14:15], v4, s[4:5] scale_offset
	global_load_b64 v[16:17], v4, s[6:7] scale_offset
	;; [unrolled: 1-line block ×4, first 2 shown]
	s_wait_loadcnt 0x3
	ds_store_2addr_stride64_b64 v1, v[6:7], v[14:15] offset1:1
	s_wait_loadcnt 0x2
	ds_store_2addr_stride64_b64 v1, v[8:9], v[16:17] offset0:2 offset1:3
	s_wait_loadcnt 0x1
	ds_store_2addr_stride64_b64 v1, v[10:11], v[18:19] offset0:4 offset1:5
	;; [unrolled: 2-line block ×3, first 2 shown]
	s_wait_dscnt 0x0
	s_barrier_signal -1
	s_barrier_wait -1
	v_cmpx_lt_u32_e32 63, v0
	s_xor_b32 s1, exec_lo, s1
	s_delay_alu instid0(SALU_CYCLE_1)
	s_or_saveexec_b32 s2, s1
	v_dual_ashrrev_i32 v3, 31, v2 :: v_dual_mov_b32 v5, 0
	v_or_b32_e32 v9, 0x400, v1
	v_or_b32_e32 v8, 0x800, v1
	;; [unrolled: 1-line block ×3, first 2 shown]
	v_lshlrev_b32_e32 v6, 1, v0
	s_xor_b32 exec_lo, exec_lo, s2
	s_cbranch_execz .LBB27_2
; %bb.1:
	v_dual_add_nc_u32 v46, v1, v1 :: v_dual_add_nc_u32 v48, v8, v1
	s_delay_alu instid0(VALU_DEP_2) | instskip(NEXT) | instid1(VALU_DEP_1)
	v_min_u32_e32 v18, 0x7d, v6
	v_dual_add_nc_u32 v47, v9, v1 :: v_dual_lshlrev_b32 v49, 3, v18
	ds_load_b128 v[10:13], v46
	ds_load_b128 v[14:17], v47
	;; [unrolled: 1-line block ×3, first 2 shown]
	ds_load_2addr_b64 v[22:25], v49 offset0:2 offset1:130
	s_wait_dscnt 0x2
	v_div_scale_f64 v[30:31], null, v[14:15], v[14:15], v[12:13]
	v_div_scale_f64 v[42:43], vcc_lo, v[12:13], v[14:15], v[12:13]
	s_wait_dscnt 0x0
	v_div_scale_f64 v[32:33], null, v[24:25], v[24:25], v[20:21]
	s_delay_alu instid0(VALU_DEP_3) | instskip(NEXT) | instid1(VALU_DEP_1)
	v_rcp_f64_e32 v[34:35], v[30:31]
	v_rcp_f64_e32 v[36:37], v[32:33]
	s_delay_alu instid0(TRANS32_DEP_2) | instskip(NEXT) | instid1(TRANS32_DEP_1)
	v_fma_f64 v[38:39], -v[30:31], v[34:35], 1.0
	v_fma_f64 v[40:41], -v[32:33], v[36:37], 1.0
	s_delay_alu instid0(VALU_DEP_2) | instskip(NEXT) | instid1(VALU_DEP_2)
	v_fmac_f64_e32 v[34:35], v[34:35], v[38:39]
	v_fmac_f64_e32 v[36:37], v[36:37], v[40:41]
	s_delay_alu instid0(VALU_DEP_2) | instskip(NEXT) | instid1(VALU_DEP_2)
	v_fma_f64 v[38:39], -v[30:31], v[34:35], 1.0
	v_fma_f64 v[40:41], -v[32:33], v[36:37], 1.0
	s_delay_alu instid0(VALU_DEP_2) | instskip(SKIP_1) | instid1(VALU_DEP_3)
	v_fmac_f64_e32 v[34:35], v[34:35], v[38:39]
	v_div_scale_f64 v[38:39], s1, v[20:21], v[24:25], v[20:21]
	v_fmac_f64_e32 v[36:37], v[36:37], v[40:41]
	s_delay_alu instid0(VALU_DEP_3) | instskip(NEXT) | instid1(VALU_DEP_2)
	v_mul_f64_e32 v[40:41], v[42:43], v[34:35]
	v_mul_f64_e32 v[44:45], v[38:39], v[36:37]
	s_delay_alu instid0(VALU_DEP_2) | instskip(NEXT) | instid1(VALU_DEP_2)
	v_fma_f64 v[30:31], -v[30:31], v[40:41], v[42:43]
	v_fma_f64 v[32:33], -v[32:33], v[44:45], v[38:39]
	s_delay_alu instid0(VALU_DEP_2) | instskip(SKIP_1) | instid1(VALU_DEP_2)
	v_div_fmas_f64 v[30:31], v[30:31], v[34:35], v[40:41]
	s_mov_b32 vcc_lo, s1
	v_div_fmas_f64 v[32:33], v[32:33], v[36:37], v[44:45]
	s_delay_alu instid0(VALU_DEP_2) | instskip(SKIP_1) | instid1(VALU_DEP_3)
	v_div_fixup_f64 v[30:31], v[30:31], v[14:15], v[12:13]
	v_add_nc_u32_e32 v12, 16, v49
	v_div_fixup_f64 v[20:21], v[32:33], v[24:25], v[20:21]
	ds_load_2addr_stride64_b64 v[12:15], v12 offset0:4 offset1:8
	v_fma_f64 v[16:17], -v[30:31], v[18:19], v[16:17]
	v_add_nc_u32_e32 v50, v7, v1
	v_mul_f64_e64 v[10:11], v[30:31], -v[10:11]
	s_wait_dscnt 0x0
	v_mul_f64_e64 v[12:13], v[20:21], -v[12:13]
	s_delay_alu instid0(VALU_DEP_4) | instskip(SKIP_3) | instid1(VALU_DEP_1)
	v_fma_f64 v[16:17], -v[20:21], v[22:23], v[16:17]
	ds_load_b128 v[26:29], v50
	s_wait_dscnt 0x0
	v_fma_f64 v[18:19], -v[30:31], v[26:27], v[28:29]
	v_fma_f64 v[14:15], -v[20:21], v[14:15], v[18:19]
	ds_store_b64 v47, v[16:17] offset:8
	ds_store_b64 v50, v[14:15] offset:8
	;; [unrolled: 1-line block ×4, first 2 shown]
.LBB27_2:
	s_or_b32 exec_lo, exec_lo, s2
	v_dual_add_nc_u32 v10, v1, v1 :: v_dual_add_nc_u32 v12, v8, v1
	v_dual_add_nc_u32 v11, v9, v1 :: v_dual_add_nc_u32 v7, v7, v1
	s_wait_dscnt 0x0
	s_barrier_signal -1
	s_barrier_wait -1
	ds_load_b64 v[8:9], v10 offset:8
	ds_load_b64 v[10:11], v11 offset:8
	;; [unrolled: 1-line block ×4, first 2 shown]
	v_sub_nc_u32_e64 v7, v0, 1 clamp
	v_min_u32_e32 v16, 62, v0
	s_wait_dscnt 0x2
	ds_store_2addr_stride64_b64 v1, v[8:9], v[10:11] offset0:10 offset1:11
	s_wait_dscnt 0x1
	ds_store_2addr_stride64_b64 v1, v[12:13], v[14:15] offset0:12 offset1:14
	v_dual_lshlrev_b32 v7, 3, v7 :: v_dual_lshlrev_b32 v16, 3, v16
	s_wait_dscnt 0x0
	s_barrier_signal -1
	s_barrier_wait -1
	ds_load_2addr_stride64_b64 v[8:11], v1 offset0:10 offset1:11
	ds_load_2addr_stride64_b64 v[12:15], v7 offset0:10 offset1:11
	v_add_nc_u32_e32 v40, 8, v16
	ds_load_2addr_stride64_b64 v[16:19], v1 offset0:12 offset1:14
	ds_load_2addr_stride64_b64 v[20:23], v40 offset0:10 offset1:11
	s_wait_dscnt 0x2
	v_div_scale_f64 v[24:25], null, v[14:15], v[14:15], v[8:9]
	v_div_scale_f64 v[36:37], vcc_lo, v[8:9], v[14:15], v[8:9]
	s_wait_dscnt 0x0
	v_div_scale_f64 v[26:27], null, v[22:23], v[22:23], v[16:17]
	s_delay_alu instid0(VALU_DEP_3) | instskip(NEXT) | instid1(VALU_DEP_1)
	v_rcp_f64_e32 v[28:29], v[24:25]
	v_rcp_f64_e32 v[30:31], v[26:27]
	s_delay_alu instid0(TRANS32_DEP_2) | instskip(NEXT) | instid1(TRANS32_DEP_1)
	v_fma_f64 v[32:33], -v[24:25], v[28:29], 1.0
	v_fma_f64 v[34:35], -v[26:27], v[30:31], 1.0
	s_delay_alu instid0(VALU_DEP_2) | instskip(NEXT) | instid1(VALU_DEP_2)
	v_fmac_f64_e32 v[28:29], v[28:29], v[32:33]
	v_fmac_f64_e32 v[30:31], v[30:31], v[34:35]
	s_delay_alu instid0(VALU_DEP_2) | instskip(NEXT) | instid1(VALU_DEP_2)
	v_fma_f64 v[32:33], -v[24:25], v[28:29], 1.0
	v_fma_f64 v[34:35], -v[26:27], v[30:31], 1.0
	s_delay_alu instid0(VALU_DEP_2) | instskip(SKIP_1) | instid1(VALU_DEP_3)
	v_fmac_f64_e32 v[28:29], v[28:29], v[32:33]
	v_div_scale_f64 v[32:33], s1, v[16:17], v[22:23], v[16:17]
	v_fmac_f64_e32 v[30:31], v[30:31], v[34:35]
	s_delay_alu instid0(VALU_DEP_3) | instskip(NEXT) | instid1(VALU_DEP_2)
	v_mul_f64_e32 v[34:35], v[36:37], v[28:29]
	v_mul_f64_e32 v[38:39], v[32:33], v[30:31]
	s_delay_alu instid0(VALU_DEP_2) | instskip(NEXT) | instid1(VALU_DEP_2)
	v_fma_f64 v[24:25], -v[24:25], v[34:35], v[36:37]
	v_fma_f64 v[26:27], -v[26:27], v[38:39], v[32:33]
	s_delay_alu instid0(VALU_DEP_2) | instskip(SKIP_1) | instid1(VALU_DEP_2)
	v_div_fmas_f64 v[24:25], v[24:25], v[28:29], v[34:35]
	s_mov_b32 vcc_lo, s1
	v_div_fmas_f64 v[28:29], v[26:27], v[30:31], v[38:39]
	s_delay_alu instid0(VALU_DEP_2) | instskip(SKIP_4) | instid1(VALU_DEP_2)
	v_div_fixup_f64 v[14:15], v[24:25], v[14:15], v[8:9]
	ds_load_2addr_stride64_b64 v[24:27], v7 offset0:12 offset1:14
	v_sub_nc_u32_e64 v7, v0, 2 clamp
	v_div_fixup_f64 v[16:17], v[28:29], v[22:23], v[16:17]
	s_wait_dscnt 0x0
	v_dual_fma_f64 v[22:23], -v[14:15], v[24:25], v[10:11] :: v_dual_lshlrev_b32 v7, 3, v7
	v_fma_f64 v[18:19], -v[14:15], v[26:27], v[18:19]
	ds_load_2addr_stride64_b64 v[8:11], v40 offset0:12 offset1:14
	v_mul_f64_e64 v[12:13], v[14:15], -v[12:13]
	s_wait_dscnt 0x0
	s_barrier_signal -1
	s_barrier_wait -1
	v_mul_f64_e64 v[8:9], v[16:17], -v[8:9]
	v_fma_f64 v[14:15], -v[16:17], v[20:21], v[22:23]
	v_fma_f64 v[10:11], -v[16:17], v[10:11], v[18:19]
	v_min_u32_e32 v16, 61, v0
	ds_store_2addr_stride64_b64 v1, v[12:13], v[14:15] offset0:10 offset1:11
	ds_store_2addr_stride64_b64 v1, v[8:9], v[10:11] offset0:12 offset1:14
	s_wait_dscnt 0x0
	s_barrier_signal -1
	s_barrier_wait -1
	ds_load_2addr_stride64_b64 v[8:11], v1 offset0:10 offset1:11
	ds_load_2addr_stride64_b64 v[12:15], v7 offset0:10 offset1:11
	v_lshlrev_b32_e32 v16, 3, v16
	s_delay_alu instid0(VALU_DEP_1)
	v_add_nc_u32_e32 v40, 16, v16
	ds_load_2addr_stride64_b64 v[16:19], v1 offset0:12 offset1:14
	ds_load_2addr_stride64_b64 v[20:23], v40 offset0:10 offset1:11
	s_wait_dscnt 0x2
	v_div_scale_f64 v[24:25], null, v[14:15], v[14:15], v[8:9]
	v_div_scale_f64 v[36:37], vcc_lo, v[8:9], v[14:15], v[8:9]
	s_wait_dscnt 0x0
	v_div_scale_f64 v[26:27], null, v[22:23], v[22:23], v[16:17]
	s_delay_alu instid0(VALU_DEP_3) | instskip(NEXT) | instid1(VALU_DEP_1)
	v_rcp_f64_e32 v[28:29], v[24:25]
	v_rcp_f64_e32 v[30:31], v[26:27]
	s_delay_alu instid0(TRANS32_DEP_2) | instskip(NEXT) | instid1(TRANS32_DEP_1)
	v_fma_f64 v[32:33], -v[24:25], v[28:29], 1.0
	v_fma_f64 v[34:35], -v[26:27], v[30:31], 1.0
	s_delay_alu instid0(VALU_DEP_2) | instskip(NEXT) | instid1(VALU_DEP_2)
	v_fmac_f64_e32 v[28:29], v[28:29], v[32:33]
	v_fmac_f64_e32 v[30:31], v[30:31], v[34:35]
	s_delay_alu instid0(VALU_DEP_2) | instskip(NEXT) | instid1(VALU_DEP_2)
	v_fma_f64 v[32:33], -v[24:25], v[28:29], 1.0
	v_fma_f64 v[34:35], -v[26:27], v[30:31], 1.0
	s_delay_alu instid0(VALU_DEP_2) | instskip(SKIP_1) | instid1(VALU_DEP_3)
	v_fmac_f64_e32 v[28:29], v[28:29], v[32:33]
	v_div_scale_f64 v[32:33], s1, v[16:17], v[22:23], v[16:17]
	v_fmac_f64_e32 v[30:31], v[30:31], v[34:35]
	s_delay_alu instid0(VALU_DEP_3) | instskip(NEXT) | instid1(VALU_DEP_2)
	v_mul_f64_e32 v[34:35], v[36:37], v[28:29]
	v_mul_f64_e32 v[38:39], v[32:33], v[30:31]
	s_delay_alu instid0(VALU_DEP_2) | instskip(NEXT) | instid1(VALU_DEP_2)
	v_fma_f64 v[24:25], -v[24:25], v[34:35], v[36:37]
	v_fma_f64 v[26:27], -v[26:27], v[38:39], v[32:33]
	s_delay_alu instid0(VALU_DEP_2) | instskip(SKIP_1) | instid1(VALU_DEP_2)
	v_div_fmas_f64 v[24:25], v[24:25], v[28:29], v[34:35]
	s_mov_b32 vcc_lo, s1
	v_div_fmas_f64 v[28:29], v[26:27], v[30:31], v[38:39]
	s_delay_alu instid0(VALU_DEP_2) | instskip(SKIP_2) | instid1(VALU_DEP_1)
	v_div_fixup_f64 v[14:15], v[24:25], v[14:15], v[8:9]
	ds_load_2addr_stride64_b64 v[24:27], v7 offset0:12 offset1:14
	v_sub_nc_u32_e64 v7, v0, 4 clamp
	v_lshlrev_b32_e32 v7, 3, v7
	v_div_fixup_f64 v[16:17], v[28:29], v[22:23], v[16:17]
	s_wait_dscnt 0x0
	v_fma_f64 v[22:23], -v[14:15], v[24:25], v[10:11]
	v_fma_f64 v[18:19], -v[14:15], v[26:27], v[18:19]
	ds_load_2addr_stride64_b64 v[8:11], v40 offset0:12 offset1:14
	v_mul_f64_e64 v[12:13], v[14:15], -v[12:13]
	s_wait_dscnt 0x0
	s_barrier_signal -1
	s_barrier_wait -1
	v_mul_f64_e64 v[8:9], v[16:17], -v[8:9]
	v_fma_f64 v[14:15], -v[16:17], v[20:21], v[22:23]
	v_fma_f64 v[10:11], -v[16:17], v[10:11], v[18:19]
	v_min_u32_e32 v16, 59, v0
	ds_store_2addr_stride64_b64 v1, v[12:13], v[14:15] offset0:10 offset1:11
	ds_store_2addr_stride64_b64 v1, v[8:9], v[10:11] offset0:12 offset1:14
	s_wait_dscnt 0x0
	s_barrier_signal -1
	s_barrier_wait -1
	ds_load_2addr_stride64_b64 v[8:11], v1 offset0:10 offset1:11
	ds_load_2addr_stride64_b64 v[12:15], v7 offset0:10 offset1:11
	v_lshlrev_b32_e32 v16, 3, v16
	s_delay_alu instid0(VALU_DEP_1)
	v_add_nc_u32_e32 v40, 32, v16
	ds_load_2addr_stride64_b64 v[16:19], v1 offset0:12 offset1:14
	ds_load_2addr_stride64_b64 v[20:23], v40 offset0:10 offset1:11
	s_wait_dscnt 0x2
	v_div_scale_f64 v[24:25], null, v[14:15], v[14:15], v[8:9]
	v_div_scale_f64 v[36:37], vcc_lo, v[8:9], v[14:15], v[8:9]
	s_wait_dscnt 0x0
	v_div_scale_f64 v[26:27], null, v[22:23], v[22:23], v[16:17]
	s_delay_alu instid0(VALU_DEP_3) | instskip(NEXT) | instid1(VALU_DEP_1)
	v_rcp_f64_e32 v[28:29], v[24:25]
	v_rcp_f64_e32 v[30:31], v[26:27]
	s_delay_alu instid0(TRANS32_DEP_2) | instskip(NEXT) | instid1(TRANS32_DEP_1)
	v_fma_f64 v[32:33], -v[24:25], v[28:29], 1.0
	v_fma_f64 v[34:35], -v[26:27], v[30:31], 1.0
	s_delay_alu instid0(VALU_DEP_2) | instskip(NEXT) | instid1(VALU_DEP_2)
	v_fmac_f64_e32 v[28:29], v[28:29], v[32:33]
	v_fmac_f64_e32 v[30:31], v[30:31], v[34:35]
	s_delay_alu instid0(VALU_DEP_2) | instskip(NEXT) | instid1(VALU_DEP_2)
	v_fma_f64 v[32:33], -v[24:25], v[28:29], 1.0
	v_fma_f64 v[34:35], -v[26:27], v[30:31], 1.0
	s_delay_alu instid0(VALU_DEP_2) | instskip(SKIP_1) | instid1(VALU_DEP_3)
	v_fmac_f64_e32 v[28:29], v[28:29], v[32:33]
	v_div_scale_f64 v[32:33], s1, v[16:17], v[22:23], v[16:17]
	v_fmac_f64_e32 v[30:31], v[30:31], v[34:35]
	s_delay_alu instid0(VALU_DEP_3) | instskip(NEXT) | instid1(VALU_DEP_2)
	v_mul_f64_e32 v[34:35], v[36:37], v[28:29]
	v_mul_f64_e32 v[38:39], v[32:33], v[30:31]
	s_delay_alu instid0(VALU_DEP_2) | instskip(NEXT) | instid1(VALU_DEP_2)
	v_fma_f64 v[24:25], -v[24:25], v[34:35], v[36:37]
	v_fma_f64 v[26:27], -v[26:27], v[38:39], v[32:33]
	s_delay_alu instid0(VALU_DEP_2) | instskip(SKIP_1) | instid1(VALU_DEP_2)
	v_div_fmas_f64 v[24:25], v[24:25], v[28:29], v[34:35]
	s_mov_b32 vcc_lo, s1
	v_div_fmas_f64 v[28:29], v[26:27], v[30:31], v[38:39]
	s_delay_alu instid0(VALU_DEP_2) | instskip(SKIP_2) | instid1(VALU_DEP_1)
	v_div_fixup_f64 v[14:15], v[24:25], v[14:15], v[8:9]
	ds_load_2addr_stride64_b64 v[24:27], v7 offset0:12 offset1:14
	v_sub_nc_u32_e64 v7, v0, 8 clamp
	v_lshlrev_b32_e32 v7, 3, v7
	v_div_fixup_f64 v[16:17], v[28:29], v[22:23], v[16:17]
	s_wait_dscnt 0x0
	v_fma_f64 v[22:23], -v[14:15], v[24:25], v[10:11]
	;; [unrolled: 61-line block ×3, first 2 shown]
	v_fma_f64 v[18:19], -v[14:15], v[26:27], v[18:19]
	ds_load_2addr_stride64_b64 v[8:11], v40 offset0:12 offset1:14
	v_mul_f64_e64 v[12:13], v[14:15], -v[12:13]
	s_wait_dscnt 0x0
	s_barrier_signal -1
	s_barrier_wait -1
	v_mul_f64_e64 v[8:9], v[16:17], -v[8:9]
	v_fma_f64 v[14:15], -v[16:17], v[20:21], v[22:23]
	v_fma_f64 v[10:11], -v[16:17], v[10:11], v[18:19]
	v_min_u32_e32 v16, 47, v0
	ds_store_2addr_stride64_b64 v1, v[12:13], v[14:15] offset0:10 offset1:11
	ds_store_2addr_stride64_b64 v1, v[8:9], v[10:11] offset0:12 offset1:14
	s_wait_dscnt 0x0
	s_barrier_signal -1
	s_barrier_wait -1
	ds_load_2addr_stride64_b64 v[8:11], v1 offset0:10 offset1:11
	ds_load_2addr_stride64_b64 v[12:15], v7 offset0:10 offset1:11
	v_lshlrev_b32_e32 v16, 3, v16
	s_delay_alu instid0(VALU_DEP_1)
	v_add_nc_u32_e32 v40, 0x80, v16
	ds_load_2addr_stride64_b64 v[16:19], v1 offset0:12 offset1:14
	ds_load_2addr_stride64_b64 v[20:23], v40 offset0:10 offset1:11
	s_wait_dscnt 0x2
	v_div_scale_f64 v[24:25], null, v[14:15], v[14:15], v[8:9]
	v_div_scale_f64 v[36:37], vcc_lo, v[8:9], v[14:15], v[8:9]
	s_wait_dscnt 0x0
	v_div_scale_f64 v[26:27], null, v[22:23], v[22:23], v[16:17]
	s_delay_alu instid0(VALU_DEP_3) | instskip(NEXT) | instid1(VALU_DEP_1)
	v_rcp_f64_e32 v[28:29], v[24:25]
	v_rcp_f64_e32 v[30:31], v[26:27]
	s_delay_alu instid0(TRANS32_DEP_2) | instskip(NEXT) | instid1(TRANS32_DEP_1)
	v_fma_f64 v[32:33], -v[24:25], v[28:29], 1.0
	v_fma_f64 v[34:35], -v[26:27], v[30:31], 1.0
	s_delay_alu instid0(VALU_DEP_2) | instskip(NEXT) | instid1(VALU_DEP_2)
	v_fmac_f64_e32 v[28:29], v[28:29], v[32:33]
	v_fmac_f64_e32 v[30:31], v[30:31], v[34:35]
	s_delay_alu instid0(VALU_DEP_2) | instskip(NEXT) | instid1(VALU_DEP_2)
	v_fma_f64 v[32:33], -v[24:25], v[28:29], 1.0
	v_fma_f64 v[34:35], -v[26:27], v[30:31], 1.0
	s_delay_alu instid0(VALU_DEP_2) | instskip(SKIP_1) | instid1(VALU_DEP_3)
	v_fmac_f64_e32 v[28:29], v[28:29], v[32:33]
	v_div_scale_f64 v[32:33], s1, v[16:17], v[22:23], v[16:17]
	v_fmac_f64_e32 v[30:31], v[30:31], v[34:35]
	s_delay_alu instid0(VALU_DEP_3) | instskip(NEXT) | instid1(VALU_DEP_2)
	v_mul_f64_e32 v[34:35], v[36:37], v[28:29]
	v_mul_f64_e32 v[38:39], v[32:33], v[30:31]
	s_delay_alu instid0(VALU_DEP_2) | instskip(NEXT) | instid1(VALU_DEP_2)
	v_fma_f64 v[24:25], -v[24:25], v[34:35], v[36:37]
	v_fma_f64 v[26:27], -v[26:27], v[38:39], v[32:33]
	s_delay_alu instid0(VALU_DEP_2) | instskip(SKIP_2) | instid1(VALU_DEP_2)
	v_div_fmas_f64 v[24:25], v[24:25], v[28:29], v[34:35]
	s_mov_b32 vcc_lo, s1
	s_mov_b32 s1, exec_lo
	v_div_fmas_f64 v[28:29], v[26:27], v[30:31], v[38:39]
	s_delay_alu instid0(VALU_DEP_2)
	v_div_fixup_f64 v[14:15], v[24:25], v[14:15], v[8:9]
	ds_load_2addr_stride64_b64 v[24:27], v7 offset0:12 offset1:14
	v_div_fixup_f64 v[16:17], v[28:29], v[22:23], v[16:17]
	s_wait_dscnt 0x0
	v_fma_f64 v[22:23], -v[14:15], v[24:25], v[10:11]
	v_fma_f64 v[18:19], -v[14:15], v[26:27], v[18:19]
	ds_load_2addr_stride64_b64 v[8:11], v40 offset0:12 offset1:14
	v_mul_f64_e64 v[12:13], v[14:15], -v[12:13]
	s_wait_dscnt 0x0
	s_barrier_signal -1
	s_barrier_wait -1
	v_mul_f64_e64 v[8:9], v[16:17], -v[8:9]
	v_fma_f64 v[14:15], -v[16:17], v[20:21], v[22:23]
	v_fma_f64 v[10:11], -v[16:17], v[10:11], v[18:19]
	ds_store_2addr_stride64_b64 v1, v[12:13], v[14:15] offset0:10 offset1:11
	ds_store_2addr_stride64_b64 v1, v[8:9], v[10:11] offset0:12 offset1:14
	s_wait_dscnt 0x0
	s_barrier_signal -1
	s_barrier_wait -1
	v_cmpx_gt_u32_e32 32, v0
	s_cbranch_execz .LBB27_4
; %bb.3:
	v_or_b32_e32 v7, 0x1800, v1
	v_or_b32_e32 v8, 0x1400, v1
	ds_load_b64 v[16:17], v7
	ds_load_b64 v[18:19], v8 offset:256
	v_or_b32_e32 v7, 0x1600, v1
	ds_load_2addr_b64 v[8:11], v7 offset1:32
	v_or_b32_e32 v7, 0x1c00, v1
	s_wait_dscnt 0x1
	v_mul_f64_e32 v[12:13], v[16:17], v[18:19]
	s_wait_dscnt 0x0
	s_delay_alu instid0(VALU_DEP_1) | instskip(NEXT) | instid1(VALU_DEP_1)
	v_fma_f64 v[20:21], v[10:11], v[8:9], -v[12:13]
	v_div_scale_f64 v[12:13], null, v[20:21], v[20:21], 1.0
	v_div_scale_f64 v[24:25], vcc_lo, 1.0, v[20:21], 1.0
	s_delay_alu instid0(VALU_DEP_2) | instskip(SKIP_1) | instid1(TRANS32_DEP_1)
	v_rcp_f64_e32 v[22:23], v[12:13]
	v_nop
	v_fma_f64 v[14:15], -v[12:13], v[22:23], 1.0
	s_delay_alu instid0(VALU_DEP_1) | instskip(NEXT) | instid1(VALU_DEP_1)
	v_fmac_f64_e32 v[22:23], v[22:23], v[14:15]
	v_fma_f64 v[14:15], -v[12:13], v[22:23], 1.0
	s_delay_alu instid0(VALU_DEP_1) | instskip(NEXT) | instid1(VALU_DEP_1)
	v_fmac_f64_e32 v[22:23], v[22:23], v[14:15]
	v_mul_f64_e32 v[26:27], v[24:25], v[22:23]
	s_delay_alu instid0(VALU_DEP_1)
	v_fma_f64 v[24:25], -v[12:13], v[26:27], v[24:25]
	ds_load_2addr_b64 v[12:15], v7 offset1:32
	v_add_nc_u32_e32 v7, 0x1800, v1
	s_wait_dscnt 0x0
	v_mul_f64_e32 v[16:17], v[16:17], v[14:15]
	v_mul_f64_e32 v[18:19], v[18:19], v[12:13]
	v_div_fmas_f64 v[22:23], v[24:25], v[22:23], v[26:27]
	s_delay_alu instid0(VALU_DEP_3) | instskip(NEXT) | instid1(VALU_DEP_3)
	v_fma_f64 v[10:11], v[10:11], v[12:13], -v[16:17]
	v_fma_f64 v[8:9], v[8:9], v[14:15], -v[18:19]
	s_delay_alu instid0(VALU_DEP_3) | instskip(NEXT) | instid1(VALU_DEP_1)
	v_div_fixup_f64 v[12:13], v[22:23], v[20:21], 1.0
	v_mul_f64_e32 v[10:11], v[12:13], v[10:11]
	s_delay_alu instid0(VALU_DEP_3)
	v_mul_f64_e32 v[8:9], v[12:13], v[8:9]
	ds_store_2addr_b64 v7, v[10:11], v[8:9] offset0:64 offset1:96
.LBB27_4:
	s_or_b32 exec_lo, exec_lo, s1
	s_wait_dscnt 0x0
	s_barrier_signal -1
	s_barrier_wait -1
	ds_load_b64 v[10:11], v1 offset:6656
	v_lshlrev_b32_e32 v7, 4, v0
	v_lshl_add_u64 v[2:3], v[2:3], 3, s[10:11]
	v_lshl_add_u64 v[4:5], v[4:5], 3, s[10:11]
	s_delay_alu instid0(VALU_DEP_3)
	v_or_b32_e32 v8, 0xc00, v7
	s_wait_dscnt 0x0
	ds_store_b64 v7, v[10:11] offset:3080
	s_wait_dscnt 0x0
	s_barrier_signal -1
	s_barrier_wait -1
	s_and_saveexec_b32 s1, s0
	s_cbranch_execz .LBB27_9
; %bb.5:
	v_lshlrev_b32_e32 v9, 3, v6
	s_mov_b32 s0, exec_lo
	ds_load_b64 v[6:7], v9 offset:4096
	v_cmpx_ne_u32_e32 0, v0
	s_xor_b32 s0, exec_lo, s0
	s_cbranch_execz .LBB27_7
; %bb.6:
	v_add_nc_u32_e32 v0, -8, v8
	ds_load_2addr_stride64_b64 v[10:13], v9 offset1:2
	ds_load_b64 v[14:15], v0
	ds_load_b64 v[16:17], v9 offset:2048
	ds_load_b64 v[18:19], v8 offset:8
                                        ; implicit-def: $vgpr9
	s_wait_dscnt 0x2
	v_fma_f64 v[6:7], -v[10:11], v[14:15], v[6:7]
	s_wait_dscnt 0x0
	s_delay_alu instid0(VALU_DEP_1) | instskip(NEXT) | instid1(VALU_DEP_1)
	v_fma_f64 v[6:7], -v[16:17], v[18:19], v[6:7]
	v_div_scale_f64 v[10:11], null, v[12:13], v[12:13], v[6:7]
	s_delay_alu instid0(VALU_DEP_1) | instskip(SKIP_1) | instid1(TRANS32_DEP_1)
	v_rcp_f64_e32 v[14:15], v[10:11]
	v_nop
	v_fma_f64 v[16:17], -v[10:11], v[14:15], 1.0
	s_delay_alu instid0(VALU_DEP_1) | instskip(NEXT) | instid1(VALU_DEP_1)
	v_fmac_f64_e32 v[14:15], v[14:15], v[16:17]
	v_fma_f64 v[16:17], -v[10:11], v[14:15], 1.0
	s_delay_alu instid0(VALU_DEP_1) | instskip(SKIP_1) | instid1(VALU_DEP_1)
	v_fmac_f64_e32 v[14:15], v[14:15], v[16:17]
	v_div_scale_f64 v[16:17], vcc_lo, v[6:7], v[12:13], v[6:7]
	v_mul_f64_e32 v[18:19], v[16:17], v[14:15]
	s_delay_alu instid0(VALU_DEP_1) | instskip(NEXT) | instid1(VALU_DEP_1)
	v_fma_f64 v[10:11], -v[10:11], v[18:19], v[16:17]
	v_div_fmas_f64 v[10:11], v[10:11], v[14:15], v[18:19]
	s_delay_alu instid0(VALU_DEP_1)
	v_div_fixup_f64 v[6:7], v[10:11], v[12:13], v[6:7]
	ds_store_b64 v8, v[6:7]
                                        ; implicit-def: $vgpr6_vgpr7
.LBB27_7:
	s_and_not1_saveexec_b32 s0, s0
	s_cbranch_execz .LBB27_9
; %bb.8:
	ds_load_2addr_stride64_b64 v[10:13], v9 offset0:2 offset1:4
	ds_load_b64 v[14:15], v8 offset:8
	s_wait_dscnt 0x0
	v_fma_f64 v[6:7], -v[12:13], v[14:15], v[6:7]
	s_delay_alu instid0(VALU_DEP_1) | instskip(NEXT) | instid1(VALU_DEP_1)
	v_div_scale_f64 v[12:13], null, v[10:11], v[10:11], v[6:7]
	v_rcp_f64_e32 v[14:15], v[12:13]
	v_nop
	s_delay_alu instid0(TRANS32_DEP_1) | instskip(NEXT) | instid1(VALU_DEP_1)
	v_fma_f64 v[16:17], -v[12:13], v[14:15], 1.0
	v_fmac_f64_e32 v[14:15], v[14:15], v[16:17]
	s_delay_alu instid0(VALU_DEP_1) | instskip(NEXT) | instid1(VALU_DEP_1)
	v_fma_f64 v[16:17], -v[12:13], v[14:15], 1.0
	v_fmac_f64_e32 v[14:15], v[14:15], v[16:17]
	v_div_scale_f64 v[16:17], vcc_lo, v[6:7], v[10:11], v[6:7]
	s_delay_alu instid0(VALU_DEP_1) | instskip(NEXT) | instid1(VALU_DEP_1)
	v_mul_f64_e32 v[18:19], v[16:17], v[14:15]
	v_fma_f64 v[12:13], -v[12:13], v[18:19], v[16:17]
	s_delay_alu instid0(VALU_DEP_1) | instskip(NEXT) | instid1(VALU_DEP_1)
	v_div_fmas_f64 v[12:13], v[12:13], v[14:15], v[18:19]
	v_div_fixup_f64 v[6:7], v[12:13], v[10:11], v[6:7]
	ds_store_b64 v8, v[6:7]
.LBB27_9:
	s_or_b32 exec_lo, exec_lo, s1
	v_sub_nc_u32_e32 v0, v8, v1
	s_wait_dscnt 0x0
	s_barrier_signal -1
	s_barrier_wait -1
	ds_load_2addr_stride64_b64 v[6:9], v0 offset1:1
	s_wait_dscnt 0x0
	s_clause 0x1
	global_store_b64 v[2:3], v[6:7], off
	global_store_b64 v[4:5], v[8:9], off
	s_endpgm
	.section	.rodata,"a",@progbits
	.p2align	6, 0x0
	.amdhsa_kernel _ZN9rocsparseL51gtsv_nopivot_strided_batch_crpcr_pow2_shared_kernelILj64ELj64EdEEviiiPKT1_S3_S3_PS1_
		.amdhsa_group_segment_fixed_size 7680
		.amdhsa_private_segment_fixed_size 0
		.amdhsa_kernarg_size 48
		.amdhsa_user_sgpr_count 2
		.amdhsa_user_sgpr_dispatch_ptr 0
		.amdhsa_user_sgpr_queue_ptr 0
		.amdhsa_user_sgpr_kernarg_segment_ptr 1
		.amdhsa_user_sgpr_dispatch_id 0
		.amdhsa_user_sgpr_kernarg_preload_length 0
		.amdhsa_user_sgpr_kernarg_preload_offset 0
		.amdhsa_user_sgpr_private_segment_size 0
		.amdhsa_wavefront_size32 1
		.amdhsa_uses_dynamic_stack 0
		.amdhsa_enable_private_segment 0
		.amdhsa_system_sgpr_workgroup_id_x 1
		.amdhsa_system_sgpr_workgroup_id_y 0
		.amdhsa_system_sgpr_workgroup_id_z 0
		.amdhsa_system_sgpr_workgroup_info 0
		.amdhsa_system_vgpr_workitem_id 0
		.amdhsa_next_free_vgpr 65
		.amdhsa_next_free_sgpr 13
		.amdhsa_named_barrier_count 0
		.amdhsa_reserve_vcc 1
		.amdhsa_float_round_mode_32 0
		.amdhsa_float_round_mode_16_64 0
		.amdhsa_float_denorm_mode_32 3
		.amdhsa_float_denorm_mode_16_64 3
		.amdhsa_fp16_overflow 0
		.amdhsa_memory_ordered 1
		.amdhsa_forward_progress 1
		.amdhsa_inst_pref_size 27
		.amdhsa_round_robin_scheduling 0
		.amdhsa_exception_fp_ieee_invalid_op 0
		.amdhsa_exception_fp_denorm_src 0
		.amdhsa_exception_fp_ieee_div_zero 0
		.amdhsa_exception_fp_ieee_overflow 0
		.amdhsa_exception_fp_ieee_underflow 0
		.amdhsa_exception_fp_ieee_inexact 0
		.amdhsa_exception_int_div_zero 0
	.end_amdhsa_kernel
	.section	.text._ZN9rocsparseL51gtsv_nopivot_strided_batch_crpcr_pow2_shared_kernelILj64ELj64EdEEviiiPKT1_S3_S3_PS1_,"axG",@progbits,_ZN9rocsparseL51gtsv_nopivot_strided_batch_crpcr_pow2_shared_kernelILj64ELj64EdEEviiiPKT1_S3_S3_PS1_,comdat
.Lfunc_end27:
	.size	_ZN9rocsparseL51gtsv_nopivot_strided_batch_crpcr_pow2_shared_kernelILj64ELj64EdEEviiiPKT1_S3_S3_PS1_, .Lfunc_end27-_ZN9rocsparseL51gtsv_nopivot_strided_batch_crpcr_pow2_shared_kernelILj64ELj64EdEEviiiPKT1_S3_S3_PS1_
                                        ; -- End function
	.set _ZN9rocsparseL51gtsv_nopivot_strided_batch_crpcr_pow2_shared_kernelILj64ELj64EdEEviiiPKT1_S3_S3_PS1_.num_vgpr, 51
	.set _ZN9rocsparseL51gtsv_nopivot_strided_batch_crpcr_pow2_shared_kernelILj64ELj64EdEEviiiPKT1_S3_S3_PS1_.num_agpr, 0
	.set _ZN9rocsparseL51gtsv_nopivot_strided_batch_crpcr_pow2_shared_kernelILj64ELj64EdEEviiiPKT1_S3_S3_PS1_.numbered_sgpr, 13
	.set _ZN9rocsparseL51gtsv_nopivot_strided_batch_crpcr_pow2_shared_kernelILj64ELj64EdEEviiiPKT1_S3_S3_PS1_.num_named_barrier, 0
	.set _ZN9rocsparseL51gtsv_nopivot_strided_batch_crpcr_pow2_shared_kernelILj64ELj64EdEEviiiPKT1_S3_S3_PS1_.private_seg_size, 0
	.set _ZN9rocsparseL51gtsv_nopivot_strided_batch_crpcr_pow2_shared_kernelILj64ELj64EdEEviiiPKT1_S3_S3_PS1_.uses_vcc, 1
	.set _ZN9rocsparseL51gtsv_nopivot_strided_batch_crpcr_pow2_shared_kernelILj64ELj64EdEEviiiPKT1_S3_S3_PS1_.uses_flat_scratch, 0
	.set _ZN9rocsparseL51gtsv_nopivot_strided_batch_crpcr_pow2_shared_kernelILj64ELj64EdEEviiiPKT1_S3_S3_PS1_.has_dyn_sized_stack, 0
	.set _ZN9rocsparseL51gtsv_nopivot_strided_batch_crpcr_pow2_shared_kernelILj64ELj64EdEEviiiPKT1_S3_S3_PS1_.has_recursion, 0
	.set _ZN9rocsparseL51gtsv_nopivot_strided_batch_crpcr_pow2_shared_kernelILj64ELj64EdEEviiiPKT1_S3_S3_PS1_.has_indirect_call, 0
	.section	.AMDGPU.csdata,"",@progbits
; Kernel info:
; codeLenInByte = 3352
; TotalNumSgprs: 15
; NumVgprs: 51
; ScratchSize: 0
; MemoryBound: 1
; FloatMode: 240
; IeeeMode: 1
; LDSByteSize: 7680 bytes/workgroup (compile time only)
; SGPRBlocks: 0
; VGPRBlocks: 4
; NumSGPRsForWavesPerEU: 15
; NumVGPRsForWavesPerEU: 65
; NamedBarCnt: 0
; Occupancy: 11
; WaveLimiterHint : 1
; COMPUTE_PGM_RSRC2:SCRATCH_EN: 0
; COMPUTE_PGM_RSRC2:USER_SGPR: 2
; COMPUTE_PGM_RSRC2:TRAP_HANDLER: 0
; COMPUTE_PGM_RSRC2:TGID_X_EN: 1
; COMPUTE_PGM_RSRC2:TGID_Y_EN: 0
; COMPUTE_PGM_RSRC2:TGID_Z_EN: 0
; COMPUTE_PGM_RSRC2:TIDIG_COMP_CNT: 0
	.section	.text._ZN9rocsparseL51gtsv_nopivot_strided_batch_crpcr_pow2_shared_kernelILj128ELj64EdEEviiiPKT1_S3_S3_PS1_,"axG",@progbits,_ZN9rocsparseL51gtsv_nopivot_strided_batch_crpcr_pow2_shared_kernelILj128ELj64EdEEviiiPKT1_S3_S3_PS1_,comdat
	.globl	_ZN9rocsparseL51gtsv_nopivot_strided_batch_crpcr_pow2_shared_kernelILj128ELj64EdEEviiiPKT1_S3_S3_PS1_ ; -- Begin function _ZN9rocsparseL51gtsv_nopivot_strided_batch_crpcr_pow2_shared_kernelILj128ELj64EdEEviiiPKT1_S3_S3_PS1_
	.p2align	8
	.type	_ZN9rocsparseL51gtsv_nopivot_strided_batch_crpcr_pow2_shared_kernelILj128ELj64EdEEviiiPKT1_S3_S3_PS1_,@function
_ZN9rocsparseL51gtsv_nopivot_strided_batch_crpcr_pow2_shared_kernelILj128ELj64EdEEviiiPKT1_S3_S3_PS1_: ; @_ZN9rocsparseL51gtsv_nopivot_strided_batch_crpcr_pow2_shared_kernelILj128ELj64EdEEviiiPKT1_S3_S3_PS1_
; %bb.0:
	s_load_b32 s2, s[0:1], 0x8
	s_bfe_u32 s3, ttmp6, 0x4000c
	s_load_b256 s[4:11], s[0:1], 0x10
	s_add_co_i32 s3, s3, 1
	s_and_b32 s12, ttmp6, 15
	s_wait_xcnt 0x0
	s_mul_i32 s0, ttmp9, s3
	s_getreg_b32 s1, hwreg(HW_REG_IB_STS2, 6, 4)
	s_add_co_i32 s12, s12, s0
	s_cmp_eq_u32 s1, 0
	v_dual_lshlrev_b32 v1, 3, v0 :: v_dual_add_nc_u32 v17, 1, v0
	s_cselect_b32 s0, ttmp9, s12
	s_wait_kmcnt 0x0
	v_mad_u32 v2, s2, s0, v0
	v_cmp_gt_u32_e64 s0, 0x80, v0
	s_delay_alu instid0(VALU_DEP_2)
	v_add_nc_u32_e32 v4, 0x80, v2
	s_clause 0x3
	global_load_b64 v[6:7], v2, s[4:5] scale_offset
	global_load_b64 v[8:9], v2, s[6:7] scale_offset
	;; [unrolled: 1-line block ×4, first 2 shown]
	s_clause 0x3
	global_load_b64 v[14:15], v4, s[4:5] scale_offset
	global_load_b64 v[18:19], v4, s[6:7] scale_offset
	;; [unrolled: 1-line block ×4, first 2 shown]
	s_wait_loadcnt 0x3
	ds_store_2addr_stride64_b64 v1, v[6:7], v[14:15] offset1:2
	s_wait_loadcnt 0x2
	ds_store_2addr_stride64_b64 v1, v[8:9], v[18:19] offset0:4 offset1:6
	s_wait_loadcnt 0x1
	ds_store_2addr_stride64_b64 v1, v[10:11], v[20:21] offset0:8 offset1:10
	;; [unrolled: 2-line block ×3, first 2 shown]
	s_wait_dscnt 0x0
	s_barrier_signal -1
	s_barrier_wait -1
	s_and_saveexec_b32 s2, s0
	s_cbranch_execz .LBB28_2
; %bb.1:
	v_lshlrev_b32_e32 v3, 4, v17
	s_delay_alu instid0(VALU_DEP_1)
	v_add_nc_u32_e32 v5, -16, v3
	ds_load_b128 v[6:9], v3 offset:2032
	ds_load_b128 v[10:13], v5
	v_lshlrev_b32_e32 v5, 1, v17
	ds_load_b128 v[18:21], v3 offset:4080
	ds_load_b128 v[22:25], v3 offset:8176
	v_min_u32_e32 v5, 0xff, v5
	s_delay_alu instid0(VALU_DEP_1)
	v_lshlrev_b32_e32 v5, 3, v5
	ds_load_2addr_stride64_b64 v[26:29], v5 offset1:4
	s_wait_dscnt 0x3
	v_div_scale_f64 v[14:15], null, v[6:7], v[6:7], v[12:13]
	v_div_scale_f64 v[40:41], vcc_lo, v[12:13], v[6:7], v[12:13]
	s_wait_dscnt 0x0
	v_div_scale_f64 v[30:31], null, v[28:29], v[28:29], v[20:21]
	s_delay_alu instid0(VALU_DEP_3) | instskip(NEXT) | instid1(VALU_DEP_1)
	v_rcp_f64_e32 v[32:33], v[14:15]
	v_rcp_f64_e32 v[34:35], v[30:31]
	s_delay_alu instid0(TRANS32_DEP_2) | instskip(NEXT) | instid1(TRANS32_DEP_1)
	v_fma_f64 v[36:37], -v[14:15], v[32:33], 1.0
	v_fma_f64 v[38:39], -v[30:31], v[34:35], 1.0
	s_delay_alu instid0(VALU_DEP_2) | instskip(NEXT) | instid1(VALU_DEP_2)
	v_fmac_f64_e32 v[32:33], v[32:33], v[36:37]
	v_fmac_f64_e32 v[34:35], v[34:35], v[38:39]
	s_delay_alu instid0(VALU_DEP_2) | instskip(NEXT) | instid1(VALU_DEP_2)
	v_fma_f64 v[36:37], -v[14:15], v[32:33], 1.0
	v_fma_f64 v[38:39], -v[30:31], v[34:35], 1.0
	s_delay_alu instid0(VALU_DEP_2) | instskip(SKIP_1) | instid1(VALU_DEP_3)
	v_fmac_f64_e32 v[32:33], v[32:33], v[36:37]
	v_div_scale_f64 v[36:37], s1, v[20:21], v[28:29], v[20:21]
	v_fmac_f64_e32 v[34:35], v[34:35], v[38:39]
	s_delay_alu instid0(VALU_DEP_3) | instskip(NEXT) | instid1(VALU_DEP_2)
	v_mul_f64_e32 v[38:39], v[40:41], v[32:33]
	v_mul_f64_e32 v[42:43], v[36:37], v[34:35]
	s_delay_alu instid0(VALU_DEP_2) | instskip(NEXT) | instid1(VALU_DEP_2)
	v_fma_f64 v[14:15], -v[14:15], v[38:39], v[40:41]
	v_fma_f64 v[30:31], -v[30:31], v[42:43], v[36:37]
	s_delay_alu instid0(VALU_DEP_2) | instskip(SKIP_1) | instid1(VALU_DEP_2)
	v_div_fmas_f64 v[14:15], v[14:15], v[32:33], v[38:39]
	s_mov_b32 vcc_lo, s1
	v_div_fmas_f64 v[30:31], v[30:31], v[34:35], v[42:43]
	s_delay_alu instid0(VALU_DEP_2) | instskip(NEXT) | instid1(VALU_DEP_2)
	v_div_fixup_f64 v[12:13], v[14:15], v[6:7], v[12:13]
	v_div_fixup_f64 v[14:15], v[30:31], v[28:29], v[20:21]
	s_delay_alu instid0(VALU_DEP_2)
	v_fma_f64 v[20:21], -v[12:13], v[22:23], v[24:25]
	v_fma_f64 v[18:19], -v[12:13], v[18:19], v[8:9]
	ds_load_2addr_stride64_b64 v[6:9], v5 offset0:8 offset1:16
	v_mul_f64_e64 v[10:11], v[12:13], -v[10:11]
	v_add_nc_u32_e32 v5, -8, v3
	s_wait_dscnt 0x0
	v_mul_f64_e64 v[6:7], v[14:15], -v[6:7]
	v_fma_f64 v[8:9], -v[14:15], v[8:9], v[20:21]
	v_fma_f64 v[12:13], -v[14:15], v[26:27], v[18:19]
	v_add_nc_u32_e32 v14, 0x1f8, v3
	ds_store_b64 v3, v[8:9] offset:8184
	ds_store_b64 v5, v[10:11]
	ds_store_2addr_stride64_b64 v14, v[12:13], v[6:7] offset0:3 offset1:7
.LBB28_2:
	s_or_b32 exec_lo, exec_lo, s2
	v_cmp_gt_u32_e64 s1, 64, v0
	v_lshlrev_b32_e32 v14, 5, v17
	s_wait_dscnt 0x0
	s_barrier_signal -1
	s_barrier_wait -1
	s_and_saveexec_b32 s3, s1
	s_cbranch_execz .LBB28_4
; %bb.3:
	v_lshl_or_b32 v5, v17, 2, 1
	v_subrev_nc_u32_e32 v10, 24, v14
	s_delay_alu instid0(VALU_DEP_2) | instskip(NEXT) | instid1(VALU_DEP_1)
	v_min_u32_e32 v5, 0xff, v5
	v_dual_add_nc_u32 v3, -8, v14 :: v_dual_lshlrev_b32 v5, 3, v5
	ds_load_2addr_b64 v[6:9], v14 offset0:253 offset1:255
	ds_load_b64 v[22:23], v3
	ds_load_b64 v[26:27], v10
	v_add_nc_u32_e32 v10, 0x800, v14
	ds_load_2addr_b64 v[10:13], v10 offset0:253 offset1:255
	ds_load_2addr_stride64_b64 v[18:21], v5 offset1:4
	s_wait_dscnt 0x3
	v_div_scale_f64 v[24:25], null, v[6:7], v[6:7], v[22:23]
	v_div_scale_f64 v[38:39], vcc_lo, v[22:23], v[6:7], v[22:23]
	s_wait_dscnt 0x0
	v_div_scale_f64 v[28:29], null, v[20:21], v[20:21], v[12:13]
	s_delay_alu instid0(VALU_DEP_3) | instskip(NEXT) | instid1(VALU_DEP_1)
	v_rcp_f64_e32 v[30:31], v[24:25]
	v_rcp_f64_e32 v[32:33], v[28:29]
	s_delay_alu instid0(TRANS32_DEP_2) | instskip(NEXT) | instid1(TRANS32_DEP_1)
	v_fma_f64 v[34:35], -v[24:25], v[30:31], 1.0
	v_fma_f64 v[36:37], -v[28:29], v[32:33], 1.0
	s_delay_alu instid0(VALU_DEP_2) | instskip(NEXT) | instid1(VALU_DEP_2)
	v_fmac_f64_e32 v[30:31], v[30:31], v[34:35]
	v_fmac_f64_e32 v[32:33], v[32:33], v[36:37]
	s_delay_alu instid0(VALU_DEP_2) | instskip(NEXT) | instid1(VALU_DEP_2)
	v_fma_f64 v[34:35], -v[24:25], v[30:31], 1.0
	v_fma_f64 v[36:37], -v[28:29], v[32:33], 1.0
	s_delay_alu instid0(VALU_DEP_2) | instskip(SKIP_1) | instid1(VALU_DEP_3)
	v_fmac_f64_e32 v[30:31], v[30:31], v[34:35]
	v_div_scale_f64 v[34:35], s2, v[12:13], v[20:21], v[12:13]
	v_fmac_f64_e32 v[32:33], v[32:33], v[36:37]
	s_delay_alu instid0(VALU_DEP_3) | instskip(NEXT) | instid1(VALU_DEP_2)
	v_mul_f64_e32 v[36:37], v[38:39], v[30:31]
	v_mul_f64_e32 v[40:41], v[34:35], v[32:33]
	s_delay_alu instid0(VALU_DEP_2) | instskip(NEXT) | instid1(VALU_DEP_2)
	v_fma_f64 v[24:25], -v[24:25], v[36:37], v[38:39]
	v_fma_f64 v[28:29], -v[28:29], v[40:41], v[34:35]
	s_delay_alu instid0(VALU_DEP_2) | instskip(SKIP_1) | instid1(VALU_DEP_2)
	v_div_fmas_f64 v[24:25], v[24:25], v[30:31], v[36:37]
	s_mov_b32 vcc_lo, s2
	v_div_fmas_f64 v[28:29], v[28:29], v[32:33], v[40:41]
	s_delay_alu instid0(VALU_DEP_2)
	v_div_fixup_f64 v[30:31], v[24:25], v[6:7], v[22:23]
	v_add_nc_u32_e32 v6, 0x1800, v14
	ds_load_2addr_b64 v[22:25], v6 offset0:253 offset1:255
	v_div_fixup_f64 v[12:13], v[28:29], v[20:21], v[12:13]
	s_wait_dscnt 0x0
	v_fma_f64 v[20:21], -v[30:31], v[22:23], v[24:25]
	v_fma_f64 v[10:11], -v[30:31], v[10:11], v[8:9]
	ds_load_2addr_stride64_b64 v[6:9], v5 offset0:8 offset1:16
	v_mul_f64_e64 v[22:23], v[30:31], -v[26:27]
	v_add_nc_u32_e32 v5, 0x1f8, v14
	s_wait_dscnt 0x0
	v_mul_f64_e64 v[6:7], v[12:13], -v[6:7]
	v_fma_f64 v[8:9], -v[12:13], v[8:9], v[20:21]
	v_fma_f64 v[10:11], -v[12:13], v[18:19], v[10:11]
	ds_store_b64 v14, v[8:9] offset:8184
	ds_store_b64 v3, v[22:23]
	ds_store_2addr_stride64_b64 v5, v[10:11], v[6:7] offset0:3 offset1:7
.LBB28_4:
	s_or_b32 exec_lo, exec_lo, s3
	s_wait_dscnt 0x0
	s_barrier_signal -1
	s_barrier_wait -1
	s_and_saveexec_b32 s2, s1
	s_cbranch_execz .LBB28_6
; %bb.5:
	v_add_nc_u32_e32 v3, 0x1f8, v14
	v_add_nc_u32_e32 v5, -8, v14
	ds_load_2addr_stride64_b64 v[6:9], v3 offset0:3 offset1:7
	ds_load_b64 v[10:11], v5
	ds_load_b64 v[12:13], v14 offset:8184
	s_wait_dscnt 0x1
	ds_store_2addr_stride64_b64 v1, v[10:11], v[6:7] offset0:20 offset1:21
	s_wait_dscnt 0x1
	ds_store_2addr_stride64_b64 v1, v[8:9], v[12:13] offset0:22 offset1:24
.LBB28_6:
	s_or_b32 exec_lo, exec_lo, s2
	v_or_b32_e32 v5, 0x2800, v1
	v_or_b32_e32 v16, 0x2c00, v1
	v_add_nc_u32_e32 v15, 0x2a00, v1
	v_or_b32_e32 v3, 0x3000, v1
	s_wait_dscnt 0x0
	s_barrier_signal -1
	s_barrier_wait -1
                                        ; implicit-def: $vgpr10_vgpr11
                                        ; implicit-def: $vgpr12_vgpr13
                                        ; implicit-def: $vgpr8_vgpr9
                                        ; implicit-def: $vgpr6_vgpr7
	s_and_saveexec_b32 s3, s1
	s_cbranch_execz .LBB28_8
; %bb.7:
	v_sub_nc_u32_e64 v6, v0, 1 clamp
	v_min_u32_e32 v10, 63, v17
	s_delay_alu instid0(VALU_DEP_2)
	v_lshlrev_b32_e32 v42, 3, v6
	ds_load_b64 v[18:19], v5
	ds_load_2addr_stride64_b64 v[6:9], v42 offset0:20 offset1:21
	ds_load_b64 v[22:23], v16
	ds_load_b64 v[24:25], v15
	;; [unrolled: 1-line block ×3, first 2 shown]
	s_wait_dscnt 0x3
	v_div_scale_f64 v[20:21], null, v[8:9], v[8:9], v[18:19]
	v_div_scale_f64 v[38:39], vcc_lo, v[18:19], v[8:9], v[18:19]
	v_lshlrev_b32_e32 v17, 3, v10
	ds_load_2addr_stride64_b64 v[10:13], v17 offset0:20 offset1:21
	s_wait_dscnt 0x0
	v_div_scale_f64 v[28:29], null, v[12:13], v[12:13], v[22:23]
	v_rcp_f64_e32 v[30:31], v[20:21]
	s_delay_alu instid0(VALU_DEP_1) | instskip(NEXT) | instid1(TRANS32_DEP_2)
	v_rcp_f64_e32 v[32:33], v[28:29]
	v_fma_f64 v[34:35], -v[20:21], v[30:31], 1.0
	s_delay_alu instid0(TRANS32_DEP_1) | instskip(NEXT) | instid1(VALU_DEP_2)
	v_fma_f64 v[36:37], -v[28:29], v[32:33], 1.0
	v_fmac_f64_e32 v[30:31], v[30:31], v[34:35]
	s_delay_alu instid0(VALU_DEP_2) | instskip(NEXT) | instid1(VALU_DEP_2)
	v_fmac_f64_e32 v[32:33], v[32:33], v[36:37]
	v_fma_f64 v[34:35], -v[20:21], v[30:31], 1.0
	s_delay_alu instid0(VALU_DEP_2) | instskip(NEXT) | instid1(VALU_DEP_2)
	v_fma_f64 v[36:37], -v[28:29], v[32:33], 1.0
	v_fmac_f64_e32 v[30:31], v[30:31], v[34:35]
	v_div_scale_f64 v[34:35], s2, v[22:23], v[12:13], v[22:23]
	s_delay_alu instid0(VALU_DEP_3) | instskip(NEXT) | instid1(VALU_DEP_3)
	v_fmac_f64_e32 v[32:33], v[32:33], v[36:37]
	v_mul_f64_e32 v[36:37], v[38:39], v[30:31]
	s_delay_alu instid0(VALU_DEP_2) | instskip(NEXT) | instid1(VALU_DEP_2)
	v_mul_f64_e32 v[40:41], v[34:35], v[32:33]
	v_fma_f64 v[20:21], -v[20:21], v[36:37], v[38:39]
	s_delay_alu instid0(VALU_DEP_2) | instskip(NEXT) | instid1(VALU_DEP_2)
	v_fma_f64 v[28:29], -v[28:29], v[40:41], v[34:35]
	v_div_fmas_f64 v[20:21], v[20:21], v[30:31], v[36:37]
	s_mov_b32 vcc_lo, s2
	s_delay_alu instid0(VALU_DEP_2) | instskip(NEXT) | instid1(VALU_DEP_2)
	v_div_fmas_f64 v[28:29], v[28:29], v[32:33], v[40:41]
	v_div_fixup_f64 v[8:9], v[20:21], v[8:9], v[18:19]
	ds_load_2addr_stride64_b64 v[18:21], v42 offset0:22 offset1:24
	v_div_fixup_f64 v[12:13], v[28:29], v[12:13], v[22:23]
	s_wait_dscnt 0x0
	v_fma_f64 v[22:23], -v[8:9], v[18:19], v[24:25]
	v_fma_f64 v[24:25], -v[8:9], v[20:21], v[26:27]
	ds_load_2addr_stride64_b64 v[18:21], v17 offset0:22 offset1:24
	v_mul_f64_e64 v[6:7], v[8:9], -v[6:7]
	v_fma_f64 v[8:9], -v[12:13], v[10:11], v[22:23]
	s_wait_dscnt 0x0
	v_fma_f64 v[10:11], -v[12:13], v[20:21], v[24:25]
	v_mul_f64_e64 v[12:13], v[12:13], -v[18:19]
.LBB28_8:
	s_or_b32 exec_lo, exec_lo, s3
	s_barrier_signal -1
	s_barrier_wait -1
	s_and_saveexec_b32 s2, s1
	s_cbranch_execz .LBB28_10
; %bb.9:
	ds_store_b64 v5, v[6:7]
	ds_store_b64 v15, v[8:9]
	;; [unrolled: 1-line block ×4, first 2 shown]
.LBB28_10:
	s_or_b32 exec_lo, exec_lo, s2
	s_wait_dscnt 0x0
	s_barrier_signal -1
	s_barrier_wait -1
	s_and_saveexec_b32 s3, s1
	s_cbranch_execz .LBB28_12
; %bb.11:
	v_sub_nc_u32_e64 v6, v0, 2 clamp
	v_min_u32_e32 v10, 61, v0
	s_delay_alu instid0(VALU_DEP_2)
	v_lshlrev_b32_e32 v17, 3, v6
	ds_load_b64 v[18:19], v5
	ds_load_2addr_stride64_b64 v[6:9], v17 offset0:20 offset1:21
	ds_load_b64 v[22:23], v16
	ds_load_b64 v[24:25], v15
	;; [unrolled: 1-line block ×3, first 2 shown]
	s_wait_dscnt 0x3
	v_div_scale_f64 v[20:21], null, v[8:9], v[8:9], v[18:19]
	v_div_scale_f64 v[38:39], vcc_lo, v[18:19], v[8:9], v[18:19]
	v_lshlrev_b32_e32 v10, 3, v10
	s_delay_alu instid0(VALU_DEP_1) | instskip(SKIP_4) | instid1(VALU_DEP_1)
	v_add_nc_u32_e32 v42, 16, v10
	ds_load_2addr_stride64_b64 v[10:13], v42 offset0:20 offset1:21
	v_rcp_f64_e32 v[30:31], v[20:21]
	s_wait_dscnt 0x0
	v_div_scale_f64 v[28:29], null, v[12:13], v[12:13], v[22:23]
	v_rcp_f64_e32 v[32:33], v[28:29]
	s_delay_alu instid0(TRANS32_DEP_2) | instskip(NEXT) | instid1(VALU_DEP_1)
	v_fma_f64 v[34:35], -v[20:21], v[30:31], 1.0
	v_fmac_f64_e32 v[30:31], v[30:31], v[34:35]
	s_delay_alu instid0(TRANS32_DEP_1) | instskip(NEXT) | instid1(VALU_DEP_2)
	v_fma_f64 v[36:37], -v[28:29], v[32:33], 1.0
	v_fma_f64 v[34:35], -v[20:21], v[30:31], 1.0
	s_delay_alu instid0(VALU_DEP_2) | instskip(NEXT) | instid1(VALU_DEP_2)
	v_fmac_f64_e32 v[32:33], v[32:33], v[36:37]
	v_fmac_f64_e32 v[30:31], v[30:31], v[34:35]
	v_div_scale_f64 v[34:35], s2, v[22:23], v[12:13], v[22:23]
	s_delay_alu instid0(VALU_DEP_3) | instskip(NEXT) | instid1(VALU_DEP_1)
	v_fma_f64 v[36:37], -v[28:29], v[32:33], 1.0
	v_fmac_f64_e32 v[32:33], v[32:33], v[36:37]
	s_delay_alu instid0(VALU_DEP_4) | instskip(NEXT) | instid1(VALU_DEP_2)
	v_mul_f64_e32 v[36:37], v[38:39], v[30:31]
	v_mul_f64_e32 v[40:41], v[34:35], v[32:33]
	s_delay_alu instid0(VALU_DEP_2) | instskip(NEXT) | instid1(VALU_DEP_2)
	v_fma_f64 v[20:21], -v[20:21], v[36:37], v[38:39]
	v_fma_f64 v[28:29], -v[28:29], v[40:41], v[34:35]
	s_delay_alu instid0(VALU_DEP_2) | instskip(SKIP_1) | instid1(VALU_DEP_2)
	v_div_fmas_f64 v[20:21], v[20:21], v[30:31], v[36:37]
	s_mov_b32 vcc_lo, s2
	v_div_fmas_f64 v[28:29], v[28:29], v[32:33], v[40:41]
	s_delay_alu instid0(VALU_DEP_2)
	v_div_fixup_f64 v[8:9], v[20:21], v[8:9], v[18:19]
	ds_load_2addr_stride64_b64 v[18:21], v17 offset0:22 offset1:24
	v_div_fixup_f64 v[12:13], v[28:29], v[12:13], v[22:23]
	s_wait_dscnt 0x0
	v_fma_f64 v[22:23], -v[8:9], v[18:19], v[24:25]
	v_fma_f64 v[24:25], -v[8:9], v[20:21], v[26:27]
	ds_load_2addr_stride64_b64 v[18:21], v42 offset0:22 offset1:24
	v_mul_f64_e64 v[6:7], v[8:9], -v[6:7]
	v_fma_f64 v[8:9], -v[12:13], v[10:11], v[22:23]
	s_wait_dscnt 0x0
	v_fma_f64 v[10:11], -v[12:13], v[20:21], v[24:25]
	v_mul_f64_e64 v[12:13], v[12:13], -v[18:19]
.LBB28_12:
	s_or_b32 exec_lo, exec_lo, s3
	s_barrier_signal -1
	s_barrier_wait -1
	s_and_saveexec_b32 s2, s1
	s_cbranch_execz .LBB28_14
; %bb.13:
	ds_store_b64 v5, v[6:7]
	ds_store_b64 v15, v[8:9]
	ds_store_b64 v3, v[10:11]
	ds_store_b64 v16, v[12:13]
.LBB28_14:
	s_or_b32 exec_lo, exec_lo, s2
	s_wait_dscnt 0x0
	s_barrier_signal -1
	s_barrier_wait -1
	s_and_saveexec_b32 s3, s1
	s_cbranch_execz .LBB28_16
; %bb.15:
	v_sub_nc_u32_e64 v6, v0, 4 clamp
	v_min_u32_e32 v10, 59, v0
	s_delay_alu instid0(VALU_DEP_2)
	v_lshlrev_b32_e32 v17, 3, v6
	ds_load_b64 v[18:19], v5
	ds_load_2addr_stride64_b64 v[6:9], v17 offset0:20 offset1:21
	ds_load_b64 v[22:23], v16
	ds_load_b64 v[24:25], v15
	;; [unrolled: 1-line block ×3, first 2 shown]
	s_wait_dscnt 0x3
	v_div_scale_f64 v[20:21], null, v[8:9], v[8:9], v[18:19]
	v_div_scale_f64 v[38:39], vcc_lo, v[18:19], v[8:9], v[18:19]
	v_lshlrev_b32_e32 v10, 3, v10
	s_delay_alu instid0(VALU_DEP_1) | instskip(SKIP_4) | instid1(VALU_DEP_1)
	v_add_nc_u32_e32 v42, 32, v10
	ds_load_2addr_stride64_b64 v[10:13], v42 offset0:20 offset1:21
	v_rcp_f64_e32 v[30:31], v[20:21]
	s_wait_dscnt 0x0
	v_div_scale_f64 v[28:29], null, v[12:13], v[12:13], v[22:23]
	v_rcp_f64_e32 v[32:33], v[28:29]
	s_delay_alu instid0(TRANS32_DEP_2) | instskip(NEXT) | instid1(VALU_DEP_1)
	v_fma_f64 v[34:35], -v[20:21], v[30:31], 1.0
	v_fmac_f64_e32 v[30:31], v[30:31], v[34:35]
	s_delay_alu instid0(TRANS32_DEP_1) | instskip(NEXT) | instid1(VALU_DEP_2)
	v_fma_f64 v[36:37], -v[28:29], v[32:33], 1.0
	v_fma_f64 v[34:35], -v[20:21], v[30:31], 1.0
	s_delay_alu instid0(VALU_DEP_2) | instskip(NEXT) | instid1(VALU_DEP_2)
	v_fmac_f64_e32 v[32:33], v[32:33], v[36:37]
	v_fmac_f64_e32 v[30:31], v[30:31], v[34:35]
	v_div_scale_f64 v[34:35], s2, v[22:23], v[12:13], v[22:23]
	s_delay_alu instid0(VALU_DEP_3) | instskip(NEXT) | instid1(VALU_DEP_1)
	v_fma_f64 v[36:37], -v[28:29], v[32:33], 1.0
	v_fmac_f64_e32 v[32:33], v[32:33], v[36:37]
	s_delay_alu instid0(VALU_DEP_4) | instskip(NEXT) | instid1(VALU_DEP_2)
	v_mul_f64_e32 v[36:37], v[38:39], v[30:31]
	v_mul_f64_e32 v[40:41], v[34:35], v[32:33]
	s_delay_alu instid0(VALU_DEP_2) | instskip(NEXT) | instid1(VALU_DEP_2)
	v_fma_f64 v[20:21], -v[20:21], v[36:37], v[38:39]
	v_fma_f64 v[28:29], -v[28:29], v[40:41], v[34:35]
	s_delay_alu instid0(VALU_DEP_2) | instskip(SKIP_1) | instid1(VALU_DEP_2)
	v_div_fmas_f64 v[20:21], v[20:21], v[30:31], v[36:37]
	s_mov_b32 vcc_lo, s2
	v_div_fmas_f64 v[28:29], v[28:29], v[32:33], v[40:41]
	s_delay_alu instid0(VALU_DEP_2)
	v_div_fixup_f64 v[8:9], v[20:21], v[8:9], v[18:19]
	ds_load_2addr_stride64_b64 v[18:21], v17 offset0:22 offset1:24
	v_div_fixup_f64 v[12:13], v[28:29], v[12:13], v[22:23]
	s_wait_dscnt 0x0
	v_fma_f64 v[22:23], -v[8:9], v[18:19], v[24:25]
	v_fma_f64 v[24:25], -v[8:9], v[20:21], v[26:27]
	ds_load_2addr_stride64_b64 v[18:21], v42 offset0:22 offset1:24
	v_mul_f64_e64 v[6:7], v[8:9], -v[6:7]
	v_fma_f64 v[8:9], -v[12:13], v[10:11], v[22:23]
	s_wait_dscnt 0x0
	v_fma_f64 v[10:11], -v[12:13], v[20:21], v[24:25]
	v_mul_f64_e64 v[12:13], v[12:13], -v[18:19]
.LBB28_16:
	s_or_b32 exec_lo, exec_lo, s3
	s_barrier_signal -1
	s_barrier_wait -1
	s_and_saveexec_b32 s2, s1
	s_cbranch_execz .LBB28_18
; %bb.17:
	ds_store_b64 v5, v[6:7]
	ds_store_b64 v15, v[8:9]
	;; [unrolled: 1-line block ×4, first 2 shown]
.LBB28_18:
	s_or_b32 exec_lo, exec_lo, s2
	s_wait_dscnt 0x0
	s_barrier_signal -1
	s_barrier_wait -1
	s_and_saveexec_b32 s3, s1
	s_cbranch_execz .LBB28_20
; %bb.19:
	v_sub_nc_u32_e64 v6, v0, 8 clamp
	v_min_u32_e32 v10, 55, v0
	s_delay_alu instid0(VALU_DEP_2)
	v_lshlrev_b32_e32 v17, 3, v6
	ds_load_b64 v[18:19], v5
	ds_load_2addr_stride64_b64 v[6:9], v17 offset0:20 offset1:21
	ds_load_b64 v[22:23], v16
	ds_load_b64 v[24:25], v15
	;; [unrolled: 1-line block ×3, first 2 shown]
	s_wait_dscnt 0x3
	v_div_scale_f64 v[20:21], null, v[8:9], v[8:9], v[18:19]
	v_div_scale_f64 v[38:39], vcc_lo, v[18:19], v[8:9], v[18:19]
	v_lshlrev_b32_e32 v10, 3, v10
	s_delay_alu instid0(VALU_DEP_1) | instskip(SKIP_4) | instid1(VALU_DEP_1)
	v_add_nc_u32_e32 v42, 64, v10
	ds_load_2addr_stride64_b64 v[10:13], v42 offset0:20 offset1:21
	v_rcp_f64_e32 v[30:31], v[20:21]
	s_wait_dscnt 0x0
	v_div_scale_f64 v[28:29], null, v[12:13], v[12:13], v[22:23]
	v_rcp_f64_e32 v[32:33], v[28:29]
	s_delay_alu instid0(TRANS32_DEP_2) | instskip(NEXT) | instid1(VALU_DEP_1)
	v_fma_f64 v[34:35], -v[20:21], v[30:31], 1.0
	v_fmac_f64_e32 v[30:31], v[30:31], v[34:35]
	s_delay_alu instid0(TRANS32_DEP_1) | instskip(NEXT) | instid1(VALU_DEP_2)
	v_fma_f64 v[36:37], -v[28:29], v[32:33], 1.0
	v_fma_f64 v[34:35], -v[20:21], v[30:31], 1.0
	s_delay_alu instid0(VALU_DEP_2) | instskip(NEXT) | instid1(VALU_DEP_2)
	v_fmac_f64_e32 v[32:33], v[32:33], v[36:37]
	v_fmac_f64_e32 v[30:31], v[30:31], v[34:35]
	v_div_scale_f64 v[34:35], s2, v[22:23], v[12:13], v[22:23]
	s_delay_alu instid0(VALU_DEP_3) | instskip(NEXT) | instid1(VALU_DEP_1)
	v_fma_f64 v[36:37], -v[28:29], v[32:33], 1.0
	v_fmac_f64_e32 v[32:33], v[32:33], v[36:37]
	s_delay_alu instid0(VALU_DEP_4) | instskip(NEXT) | instid1(VALU_DEP_2)
	v_mul_f64_e32 v[36:37], v[38:39], v[30:31]
	v_mul_f64_e32 v[40:41], v[34:35], v[32:33]
	s_delay_alu instid0(VALU_DEP_2) | instskip(NEXT) | instid1(VALU_DEP_2)
	v_fma_f64 v[20:21], -v[20:21], v[36:37], v[38:39]
	v_fma_f64 v[28:29], -v[28:29], v[40:41], v[34:35]
	s_delay_alu instid0(VALU_DEP_2) | instskip(SKIP_1) | instid1(VALU_DEP_2)
	v_div_fmas_f64 v[20:21], v[20:21], v[30:31], v[36:37]
	s_mov_b32 vcc_lo, s2
	v_div_fmas_f64 v[28:29], v[28:29], v[32:33], v[40:41]
	s_delay_alu instid0(VALU_DEP_2)
	v_div_fixup_f64 v[8:9], v[20:21], v[8:9], v[18:19]
	ds_load_2addr_stride64_b64 v[18:21], v17 offset0:22 offset1:24
	v_div_fixup_f64 v[12:13], v[28:29], v[12:13], v[22:23]
	s_wait_dscnt 0x0
	v_fma_f64 v[22:23], -v[8:9], v[18:19], v[24:25]
	v_fma_f64 v[24:25], -v[8:9], v[20:21], v[26:27]
	ds_load_2addr_stride64_b64 v[18:21], v42 offset0:22 offset1:24
	v_mul_f64_e64 v[6:7], v[8:9], -v[6:7]
	v_fma_f64 v[8:9], -v[12:13], v[10:11], v[22:23]
	s_wait_dscnt 0x0
	v_fma_f64 v[10:11], -v[12:13], v[20:21], v[24:25]
	v_mul_f64_e64 v[12:13], v[12:13], -v[18:19]
.LBB28_20:
	s_or_b32 exec_lo, exec_lo, s3
	s_barrier_signal -1
	s_barrier_wait -1
	s_and_saveexec_b32 s2, s1
	s_cbranch_execz .LBB28_22
; %bb.21:
	ds_store_b64 v5, v[6:7]
	ds_store_b64 v15, v[8:9]
	;; [unrolled: 1-line block ×4, first 2 shown]
.LBB28_22:
	s_or_b32 exec_lo, exec_lo, s2
	s_wait_dscnt 0x0
	s_barrier_signal -1
	s_barrier_wait -1
	s_and_saveexec_b32 s3, s1
	s_cbranch_execz .LBB28_24
; %bb.23:
	v_sub_nc_u32_e64 v6, v0, 16 clamp
	v_min_u32_e32 v10, 47, v0
	s_delay_alu instid0(VALU_DEP_2)
	v_lshlrev_b32_e32 v17, 3, v6
	ds_load_b64 v[18:19], v5
	ds_load_2addr_stride64_b64 v[6:9], v17 offset0:20 offset1:21
	ds_load_b64 v[22:23], v16
	ds_load_b64 v[24:25], v15
	;; [unrolled: 1-line block ×3, first 2 shown]
	s_wait_dscnt 0x3
	v_div_scale_f64 v[20:21], null, v[8:9], v[8:9], v[18:19]
	v_div_scale_f64 v[38:39], vcc_lo, v[18:19], v[8:9], v[18:19]
	v_lshlrev_b32_e32 v10, 3, v10
	s_delay_alu instid0(VALU_DEP_1) | instskip(SKIP_4) | instid1(VALU_DEP_1)
	v_add_nc_u32_e32 v42, 0x80, v10
	ds_load_2addr_stride64_b64 v[10:13], v42 offset0:20 offset1:21
	v_rcp_f64_e32 v[30:31], v[20:21]
	s_wait_dscnt 0x0
	v_div_scale_f64 v[28:29], null, v[12:13], v[12:13], v[22:23]
	v_rcp_f64_e32 v[32:33], v[28:29]
	s_delay_alu instid0(TRANS32_DEP_2) | instskip(NEXT) | instid1(VALU_DEP_1)
	v_fma_f64 v[34:35], -v[20:21], v[30:31], 1.0
	v_fmac_f64_e32 v[30:31], v[30:31], v[34:35]
	s_delay_alu instid0(TRANS32_DEP_1) | instskip(NEXT) | instid1(VALU_DEP_2)
	v_fma_f64 v[36:37], -v[28:29], v[32:33], 1.0
	v_fma_f64 v[34:35], -v[20:21], v[30:31], 1.0
	s_delay_alu instid0(VALU_DEP_2) | instskip(NEXT) | instid1(VALU_DEP_2)
	v_fmac_f64_e32 v[32:33], v[32:33], v[36:37]
	v_fmac_f64_e32 v[30:31], v[30:31], v[34:35]
	v_div_scale_f64 v[34:35], s2, v[22:23], v[12:13], v[22:23]
	s_delay_alu instid0(VALU_DEP_3) | instskip(NEXT) | instid1(VALU_DEP_1)
	v_fma_f64 v[36:37], -v[28:29], v[32:33], 1.0
	v_fmac_f64_e32 v[32:33], v[32:33], v[36:37]
	s_delay_alu instid0(VALU_DEP_4) | instskip(NEXT) | instid1(VALU_DEP_2)
	v_mul_f64_e32 v[36:37], v[38:39], v[30:31]
	v_mul_f64_e32 v[40:41], v[34:35], v[32:33]
	s_delay_alu instid0(VALU_DEP_2) | instskip(NEXT) | instid1(VALU_DEP_2)
	v_fma_f64 v[20:21], -v[20:21], v[36:37], v[38:39]
	v_fma_f64 v[28:29], -v[28:29], v[40:41], v[34:35]
	s_delay_alu instid0(VALU_DEP_2) | instskip(SKIP_1) | instid1(VALU_DEP_2)
	v_div_fmas_f64 v[20:21], v[20:21], v[30:31], v[36:37]
	s_mov_b32 vcc_lo, s2
	v_div_fmas_f64 v[28:29], v[28:29], v[32:33], v[40:41]
	s_delay_alu instid0(VALU_DEP_2)
	v_div_fixup_f64 v[8:9], v[20:21], v[8:9], v[18:19]
	ds_load_2addr_stride64_b64 v[18:21], v17 offset0:22 offset1:24
	v_div_fixup_f64 v[12:13], v[28:29], v[12:13], v[22:23]
	s_wait_dscnt 0x0
	v_fma_f64 v[22:23], -v[8:9], v[18:19], v[24:25]
	v_fma_f64 v[24:25], -v[8:9], v[20:21], v[26:27]
	ds_load_2addr_stride64_b64 v[18:21], v42 offset0:22 offset1:24
	v_mul_f64_e64 v[6:7], v[8:9], -v[6:7]
	v_fma_f64 v[8:9], -v[12:13], v[10:11], v[22:23]
	s_wait_dscnt 0x0
	v_fma_f64 v[10:11], -v[12:13], v[20:21], v[24:25]
	v_mul_f64_e64 v[12:13], v[12:13], -v[18:19]
.LBB28_24:
	s_or_b32 exec_lo, exec_lo, s3
	s_barrier_signal -1
	s_barrier_wait -1
	s_and_saveexec_b32 s2, s1
	s_cbranch_execz .LBB28_26
; %bb.25:
	ds_store_b64 v5, v[6:7]
	ds_store_b64 v15, v[8:9]
	;; [unrolled: 1-line block ×4, first 2 shown]
.LBB28_26:
	s_or_b32 exec_lo, exec_lo, s2
	s_delay_alu instid0(SALU_CYCLE_1)
	s_mov_b32 s2, exec_lo
	s_wait_dscnt 0x0
	s_barrier_signal -1
	s_barrier_wait -1
	v_cmpx_gt_u32_e32 32, v0
	s_cbranch_execz .LBB28_28
; %bb.27:
	ds_load_b64 v[16:17], v16
	ds_load_b64 v[18:19], v5 offset:256
	ds_load_2addr_b64 v[6:9], v15 offset1:32
	s_wait_dscnt 0x1
	v_mul_f64_e32 v[10:11], v[16:17], v[18:19]
	s_wait_dscnt 0x0
	s_delay_alu instid0(VALU_DEP_1) | instskip(NEXT) | instid1(VALU_DEP_1)
	v_fma_f64 v[20:21], v[8:9], v[6:7], -v[10:11]
	v_div_scale_f64 v[10:11], null, v[20:21], v[20:21], 1.0
	v_div_scale_f64 v[24:25], vcc_lo, 1.0, v[20:21], 1.0
	s_delay_alu instid0(VALU_DEP_2) | instskip(SKIP_1) | instid1(TRANS32_DEP_1)
	v_rcp_f64_e32 v[22:23], v[10:11]
	v_nop
	v_fma_f64 v[12:13], -v[10:11], v[22:23], 1.0
	s_delay_alu instid0(VALU_DEP_1) | instskip(NEXT) | instid1(VALU_DEP_1)
	v_fmac_f64_e32 v[22:23], v[22:23], v[12:13]
	v_fma_f64 v[12:13], -v[10:11], v[22:23], 1.0
	s_delay_alu instid0(VALU_DEP_1) | instskip(NEXT) | instid1(VALU_DEP_1)
	v_fmac_f64_e32 v[22:23], v[22:23], v[12:13]
	v_mul_f64_e32 v[26:27], v[24:25], v[22:23]
	s_delay_alu instid0(VALU_DEP_1)
	v_fma_f64 v[24:25], -v[10:11], v[26:27], v[24:25]
	ds_load_2addr_b64 v[10:13], v3 offset1:32
	v_add_nc_u32_e32 v3, 0x2800, v1
	s_wait_dscnt 0x0
	v_mul_f64_e32 v[16:17], v[16:17], v[12:13]
	v_mul_f64_e32 v[18:19], v[18:19], v[10:11]
	v_div_fmas_f64 v[22:23], v[24:25], v[22:23], v[26:27]
	s_delay_alu instid0(VALU_DEP_3) | instskip(NEXT) | instid1(VALU_DEP_3)
	v_fma_f64 v[8:9], v[8:9], v[10:11], -v[16:17]
	v_fma_f64 v[6:7], v[6:7], v[12:13], -v[18:19]
	s_delay_alu instid0(VALU_DEP_3) | instskip(NEXT) | instid1(VALU_DEP_1)
	v_div_fixup_f64 v[10:11], v[22:23], v[20:21], 1.0
	v_mul_f64_e32 v[8:9], v[10:11], v[8:9]
	s_delay_alu instid0(VALU_DEP_3)
	v_mul_f64_e32 v[6:7], v[10:11], v[6:7]
	ds_store_2addr_b64 v3, v[8:9], v[6:7] offset0:192 offset1:224
.LBB28_28:
	s_or_b32 exec_lo, exec_lo, s2
	v_dual_ashrrev_i32 v3, 31, v2 :: v_dual_mov_b32 v5, 0
	s_wait_dscnt 0x0
	s_barrier_signal -1
	s_barrier_wait -1
	s_and_saveexec_b32 s2, s1
	s_cbranch_execz .LBB28_30
; %bb.29:
	ds_load_b64 v[6:7], v1 offset:11776
	s_wait_dscnt 0x0
	ds_store_b64 v14, v[6:7] offset:6136
.LBB28_30:
	s_or_b32 exec_lo, exec_lo, s2
	s_wait_dscnt 0x0
	s_barrier_signal -1
	s_barrier_wait -1
	s_and_saveexec_b32 s2, s1
	s_cbranch_execz .LBB28_34
; %bb.31:
	v_dual_lshlrev_b32 v6, 5, v0 :: v_dual_lshlrev_b32 v8, 2, v0
	s_mov_b32 s1, exec_lo
	ds_load_b64 v[6:7], v6 offset:8200
	v_lshlrev_b32_e32 v8, 3, v8
	v_cmpx_ne_u32_e32 0, v0
	s_cbranch_execz .LBB28_33
; %bb.32:
	ds_load_b64 v[10:11], v8 offset:8
	ds_load_b64 v[12:13], v8 offset:6136
	s_wait_dscnt 0x0
	v_fma_f64 v[6:7], -v[10:11], v[12:13], v[6:7]
.LBB28_33:
	s_or_b32 exec_lo, exec_lo, s1
	s_delay_alu instid0(VALU_DEP_2) | instskip(SKIP_4) | instid1(VALU_DEP_1)
	v_add_nc_u32_e32 v9, 8, v8
	ds_load_b64 v[14:15], v8 offset:6168
	ds_load_2addr_stride64_b64 v[10:13], v9 offset0:4 offset1:8
	s_wait_dscnt 0x0
	v_fma_f64 v[6:7], -v[12:13], v[14:15], v[6:7]
	v_div_scale_f64 v[12:13], null, v[10:11], v[10:11], v[6:7]
	s_delay_alu instid0(VALU_DEP_1) | instskip(SKIP_1) | instid1(TRANS32_DEP_1)
	v_rcp_f64_e32 v[14:15], v[12:13]
	v_nop
	v_fma_f64 v[16:17], -v[12:13], v[14:15], 1.0
	s_delay_alu instid0(VALU_DEP_1) | instskip(NEXT) | instid1(VALU_DEP_1)
	v_fmac_f64_e32 v[14:15], v[14:15], v[16:17]
	v_fma_f64 v[16:17], -v[12:13], v[14:15], 1.0
	s_delay_alu instid0(VALU_DEP_1) | instskip(SKIP_1) | instid1(VALU_DEP_1)
	v_fmac_f64_e32 v[14:15], v[14:15], v[16:17]
	v_div_scale_f64 v[16:17], vcc_lo, v[6:7], v[10:11], v[6:7]
	v_mul_f64_e32 v[18:19], v[16:17], v[14:15]
	s_delay_alu instid0(VALU_DEP_1) | instskip(NEXT) | instid1(VALU_DEP_1)
	v_fma_f64 v[12:13], -v[12:13], v[18:19], v[16:17]
	v_div_fmas_f64 v[12:13], v[12:13], v[14:15], v[18:19]
	s_delay_alu instid0(VALU_DEP_1)
	v_div_fixup_f64 v[6:7], v[12:13], v[10:11], v[6:7]
	ds_store_b64 v8, v[6:7] offset:6152
.LBB28_34:
	s_or_b32 exec_lo, exec_lo, s2
	v_lshl_add_u64 v[2:3], v[2:3], 3, s[10:11]
	v_lshl_add_u64 v[4:5], v[4:5], 3, s[10:11]
	s_wait_dscnt 0x0
	s_barrier_signal -1
	s_barrier_wait -1
	s_and_saveexec_b32 s1, s0
	s_cbranch_execz .LBB28_38
; %bb.35:
	v_dual_lshlrev_b32 v6, 4, v0 :: v_dual_lshlrev_b32 v8, 1, v0
	v_cmp_ne_u32_e32 vcc_lo, 0, v0
	ds_load_b64 v[6:7], v6 offset:8192
	v_lshlrev_b32_e32 v0, 3, v8
	s_and_saveexec_b32 s0, vcc_lo
	s_cbranch_execz .LBB28_37
; %bb.36:
	ds_load_b64 v[8:9], v0
	ds_load_b64 v[10:11], v0 offset:6136
	s_wait_dscnt 0x0
	v_fma_f64 v[6:7], -v[8:9], v[10:11], v[6:7]
.LBB28_37:
	s_or_b32 exec_lo, exec_lo, s0
	ds_load_2addr_stride64_b64 v[8:11], v0 offset0:4 offset1:8
	ds_load_b64 v[12:13], v0 offset:6152
	s_wait_dscnt 0x0
	v_fma_f64 v[6:7], -v[10:11], v[12:13], v[6:7]
	s_delay_alu instid0(VALU_DEP_1) | instskip(NEXT) | instid1(VALU_DEP_1)
	v_div_scale_f64 v[10:11], null, v[8:9], v[8:9], v[6:7]
	v_rcp_f64_e32 v[12:13], v[10:11]
	v_nop
	s_delay_alu instid0(TRANS32_DEP_1) | instskip(NEXT) | instid1(VALU_DEP_1)
	v_fma_f64 v[14:15], -v[10:11], v[12:13], 1.0
	v_fmac_f64_e32 v[12:13], v[12:13], v[14:15]
	s_delay_alu instid0(VALU_DEP_1) | instskip(NEXT) | instid1(VALU_DEP_1)
	v_fma_f64 v[14:15], -v[10:11], v[12:13], 1.0
	v_fmac_f64_e32 v[12:13], v[12:13], v[14:15]
	v_div_scale_f64 v[14:15], vcc_lo, v[6:7], v[8:9], v[6:7]
	s_delay_alu instid0(VALU_DEP_1) | instskip(NEXT) | instid1(VALU_DEP_1)
	v_mul_f64_e32 v[16:17], v[14:15], v[12:13]
	v_fma_f64 v[10:11], -v[10:11], v[16:17], v[14:15]
	s_delay_alu instid0(VALU_DEP_1) | instskip(NEXT) | instid1(VALU_DEP_1)
	v_div_fmas_f64 v[10:11], v[10:11], v[12:13], v[16:17]
	v_div_fixup_f64 v[6:7], v[10:11], v[8:9], v[6:7]
	ds_store_b64 v0, v[6:7] offset:6144
.LBB28_38:
	s_or_b32 exec_lo, exec_lo, s1
	s_wait_dscnt 0x0
	s_barrier_signal -1
	s_barrier_wait -1
	ds_load_2addr_stride64_b64 v[6:9], v1 offset0:12 offset1:14
	s_wait_dscnt 0x0
	s_clause 0x1
	global_store_b64 v[2:3], v[6:7], off
	global_store_b64 v[4:5], v[8:9], off
	s_endpgm
	.section	.rodata,"a",@progbits
	.p2align	6, 0x0
	.amdhsa_kernel _ZN9rocsparseL51gtsv_nopivot_strided_batch_crpcr_pow2_shared_kernelILj128ELj64EdEEviiiPKT1_S3_S3_PS1_
		.amdhsa_group_segment_fixed_size 12800
		.amdhsa_private_segment_fixed_size 0
		.amdhsa_kernarg_size 48
		.amdhsa_user_sgpr_count 2
		.amdhsa_user_sgpr_dispatch_ptr 0
		.amdhsa_user_sgpr_queue_ptr 0
		.amdhsa_user_sgpr_kernarg_segment_ptr 1
		.amdhsa_user_sgpr_dispatch_id 0
		.amdhsa_user_sgpr_kernarg_preload_length 0
		.amdhsa_user_sgpr_kernarg_preload_offset 0
		.amdhsa_user_sgpr_private_segment_size 0
		.amdhsa_wavefront_size32 1
		.amdhsa_uses_dynamic_stack 0
		.amdhsa_enable_private_segment 0
		.amdhsa_system_sgpr_workgroup_id_x 1
		.amdhsa_system_sgpr_workgroup_id_y 0
		.amdhsa_system_sgpr_workgroup_id_z 0
		.amdhsa_system_sgpr_workgroup_info 0
		.amdhsa_system_vgpr_workitem_id 0
		.amdhsa_next_free_vgpr 44
		.amdhsa_next_free_sgpr 13
		.amdhsa_named_barrier_count 0
		.amdhsa_reserve_vcc 1
		.amdhsa_float_round_mode_32 0
		.amdhsa_float_round_mode_16_64 0
		.amdhsa_float_denorm_mode_32 3
		.amdhsa_float_denorm_mode_16_64 3
		.amdhsa_fp16_overflow 0
		.amdhsa_memory_ordered 1
		.amdhsa_forward_progress 1
		.amdhsa_inst_pref_size 32
		.amdhsa_round_robin_scheduling 0
		.amdhsa_exception_fp_ieee_invalid_op 0
		.amdhsa_exception_fp_denorm_src 0
		.amdhsa_exception_fp_ieee_div_zero 0
		.amdhsa_exception_fp_ieee_overflow 0
		.amdhsa_exception_fp_ieee_underflow 0
		.amdhsa_exception_fp_ieee_inexact 0
		.amdhsa_exception_int_div_zero 0
	.end_amdhsa_kernel
	.section	.text._ZN9rocsparseL51gtsv_nopivot_strided_batch_crpcr_pow2_shared_kernelILj128ELj64EdEEviiiPKT1_S3_S3_PS1_,"axG",@progbits,_ZN9rocsparseL51gtsv_nopivot_strided_batch_crpcr_pow2_shared_kernelILj128ELj64EdEEviiiPKT1_S3_S3_PS1_,comdat
.Lfunc_end28:
	.size	_ZN9rocsparseL51gtsv_nopivot_strided_batch_crpcr_pow2_shared_kernelILj128ELj64EdEEviiiPKT1_S3_S3_PS1_, .Lfunc_end28-_ZN9rocsparseL51gtsv_nopivot_strided_batch_crpcr_pow2_shared_kernelILj128ELj64EdEEviiiPKT1_S3_S3_PS1_
                                        ; -- End function
	.set _ZN9rocsparseL51gtsv_nopivot_strided_batch_crpcr_pow2_shared_kernelILj128ELj64EdEEviiiPKT1_S3_S3_PS1_.num_vgpr, 44
	.set _ZN9rocsparseL51gtsv_nopivot_strided_batch_crpcr_pow2_shared_kernelILj128ELj64EdEEviiiPKT1_S3_S3_PS1_.num_agpr, 0
	.set _ZN9rocsparseL51gtsv_nopivot_strided_batch_crpcr_pow2_shared_kernelILj128ELj64EdEEviiiPKT1_S3_S3_PS1_.numbered_sgpr, 13
	.set _ZN9rocsparseL51gtsv_nopivot_strided_batch_crpcr_pow2_shared_kernelILj128ELj64EdEEviiiPKT1_S3_S3_PS1_.num_named_barrier, 0
	.set _ZN9rocsparseL51gtsv_nopivot_strided_batch_crpcr_pow2_shared_kernelILj128ELj64EdEEviiiPKT1_S3_S3_PS1_.private_seg_size, 0
	.set _ZN9rocsparseL51gtsv_nopivot_strided_batch_crpcr_pow2_shared_kernelILj128ELj64EdEEviiiPKT1_S3_S3_PS1_.uses_vcc, 1
	.set _ZN9rocsparseL51gtsv_nopivot_strided_batch_crpcr_pow2_shared_kernelILj128ELj64EdEEviiiPKT1_S3_S3_PS1_.uses_flat_scratch, 0
	.set _ZN9rocsparseL51gtsv_nopivot_strided_batch_crpcr_pow2_shared_kernelILj128ELj64EdEEviiiPKT1_S3_S3_PS1_.has_dyn_sized_stack, 0
	.set _ZN9rocsparseL51gtsv_nopivot_strided_batch_crpcr_pow2_shared_kernelILj128ELj64EdEEviiiPKT1_S3_S3_PS1_.has_recursion, 0
	.set _ZN9rocsparseL51gtsv_nopivot_strided_batch_crpcr_pow2_shared_kernelILj128ELj64EdEEviiiPKT1_S3_S3_PS1_.has_indirect_call, 0
	.section	.AMDGPU.csdata,"",@progbits
; Kernel info:
; codeLenInByte = 4088
; TotalNumSgprs: 15
; NumVgprs: 44
; ScratchSize: 0
; MemoryBound: 0
; FloatMode: 240
; IeeeMode: 1
; LDSByteSize: 12800 bytes/workgroup (compile time only)
; SGPRBlocks: 0
; VGPRBlocks: 2
; NumSGPRsForWavesPerEU: 15
; NumVGPRsForWavesPerEU: 44
; NamedBarCnt: 0
; Occupancy: 16
; WaveLimiterHint : 0
; COMPUTE_PGM_RSRC2:SCRATCH_EN: 0
; COMPUTE_PGM_RSRC2:USER_SGPR: 2
; COMPUTE_PGM_RSRC2:TRAP_HANDLER: 0
; COMPUTE_PGM_RSRC2:TGID_X_EN: 1
; COMPUTE_PGM_RSRC2:TGID_Y_EN: 0
; COMPUTE_PGM_RSRC2:TGID_Z_EN: 0
; COMPUTE_PGM_RSRC2:TIDIG_COMP_CNT: 0
	.section	.text._ZN9rocsparseL51gtsv_nopivot_strided_batch_crpcr_pow2_shared_kernelILj256ELj64EdEEviiiPKT1_S3_S3_PS1_,"axG",@progbits,_ZN9rocsparseL51gtsv_nopivot_strided_batch_crpcr_pow2_shared_kernelILj256ELj64EdEEviiiPKT1_S3_S3_PS1_,comdat
	.globl	_ZN9rocsparseL51gtsv_nopivot_strided_batch_crpcr_pow2_shared_kernelILj256ELj64EdEEviiiPKT1_S3_S3_PS1_ ; -- Begin function _ZN9rocsparseL51gtsv_nopivot_strided_batch_crpcr_pow2_shared_kernelILj256ELj64EdEEviiiPKT1_S3_S3_PS1_
	.p2align	8
	.type	_ZN9rocsparseL51gtsv_nopivot_strided_batch_crpcr_pow2_shared_kernelILj256ELj64EdEEviiiPKT1_S3_S3_PS1_,@function
_ZN9rocsparseL51gtsv_nopivot_strided_batch_crpcr_pow2_shared_kernelILj256ELj64EdEEviiiPKT1_S3_S3_PS1_: ; @_ZN9rocsparseL51gtsv_nopivot_strided_batch_crpcr_pow2_shared_kernelILj256ELj64EdEEviiiPKT1_S3_S3_PS1_
; %bb.0:
	s_load_b32 s2, s[0:1], 0x8
	s_bfe_u32 s3, ttmp6, 0x4000c
	s_load_b256 s[4:11], s[0:1], 0x10
	s_add_co_i32 s3, s3, 1
	s_and_b32 s12, ttmp6, 15
	s_wait_xcnt 0x0
	s_mul_i32 s0, ttmp9, s3
	s_getreg_b32 s1, hwreg(HW_REG_IB_STS2, 6, 4)
	s_add_co_i32 s12, s12, s0
	s_cmp_eq_u32 s1, 0
	v_dual_lshlrev_b32 v1, 3, v0 :: v_dual_add_nc_u32 v17, 1, v0
	s_cselect_b32 s0, ttmp9, s12
	s_wait_kmcnt 0x0
	v_mad_u32 v2, s2, s0, v0
	v_cmp_gt_u32_e64 s0, 0x100, v0
	s_delay_alu instid0(VALU_DEP_2)
	v_add_nc_u32_e32 v4, 0x100, v2
	s_clause 0x3
	global_load_b64 v[6:7], v2, s[4:5] scale_offset
	global_load_b64 v[8:9], v2, s[6:7] scale_offset
	;; [unrolled: 1-line block ×4, first 2 shown]
	s_clause 0x3
	global_load_b64 v[14:15], v4, s[4:5] scale_offset
	global_load_b64 v[18:19], v4, s[6:7] scale_offset
	;; [unrolled: 1-line block ×4, first 2 shown]
	s_wait_loadcnt 0x3
	ds_store_2addr_stride64_b64 v1, v[6:7], v[14:15] offset1:4
	s_wait_loadcnt 0x2
	ds_store_2addr_stride64_b64 v1, v[8:9], v[18:19] offset0:8 offset1:12
	s_wait_loadcnt 0x1
	ds_store_2addr_stride64_b64 v1, v[10:11], v[20:21] offset0:16 offset1:20
	;; [unrolled: 2-line block ×3, first 2 shown]
	s_wait_dscnt 0x0
	s_barrier_signal -1
	s_barrier_wait -1
	s_and_saveexec_b32 s2, s0
	s_cbranch_execz .LBB29_2
; %bb.1:
	v_lshlrev_b32_e32 v3, 4, v17
	s_delay_alu instid0(VALU_DEP_1)
	v_add_nc_u32_e32 v5, -16, v3
	ds_load_b128 v[6:9], v3 offset:4080
	ds_load_b128 v[10:13], v5
	v_lshlrev_b32_e32 v5, 1, v17
	ds_load_b128 v[18:21], v3 offset:8176
	ds_load_b128 v[22:25], v3 offset:16368
	v_min_u32_e32 v5, 0x1ff, v5
	s_delay_alu instid0(VALU_DEP_1)
	v_lshlrev_b32_e32 v5, 3, v5
	ds_load_2addr_stride64_b64 v[26:29], v5 offset1:8
	s_wait_dscnt 0x3
	v_div_scale_f64 v[14:15], null, v[6:7], v[6:7], v[12:13]
	v_div_scale_f64 v[40:41], vcc_lo, v[12:13], v[6:7], v[12:13]
	s_wait_dscnt 0x0
	v_div_scale_f64 v[30:31], null, v[28:29], v[28:29], v[20:21]
	s_delay_alu instid0(VALU_DEP_3) | instskip(NEXT) | instid1(VALU_DEP_1)
	v_rcp_f64_e32 v[32:33], v[14:15]
	v_rcp_f64_e32 v[34:35], v[30:31]
	s_delay_alu instid0(TRANS32_DEP_2) | instskip(NEXT) | instid1(TRANS32_DEP_1)
	v_fma_f64 v[36:37], -v[14:15], v[32:33], 1.0
	v_fma_f64 v[38:39], -v[30:31], v[34:35], 1.0
	s_delay_alu instid0(VALU_DEP_2) | instskip(NEXT) | instid1(VALU_DEP_2)
	v_fmac_f64_e32 v[32:33], v[32:33], v[36:37]
	v_fmac_f64_e32 v[34:35], v[34:35], v[38:39]
	s_delay_alu instid0(VALU_DEP_2) | instskip(NEXT) | instid1(VALU_DEP_2)
	v_fma_f64 v[36:37], -v[14:15], v[32:33], 1.0
	v_fma_f64 v[38:39], -v[30:31], v[34:35], 1.0
	s_delay_alu instid0(VALU_DEP_2) | instskip(SKIP_1) | instid1(VALU_DEP_3)
	v_fmac_f64_e32 v[32:33], v[32:33], v[36:37]
	v_div_scale_f64 v[36:37], s1, v[20:21], v[28:29], v[20:21]
	v_fmac_f64_e32 v[34:35], v[34:35], v[38:39]
	s_delay_alu instid0(VALU_DEP_3) | instskip(NEXT) | instid1(VALU_DEP_2)
	v_mul_f64_e32 v[38:39], v[40:41], v[32:33]
	v_mul_f64_e32 v[42:43], v[36:37], v[34:35]
	s_delay_alu instid0(VALU_DEP_2) | instskip(NEXT) | instid1(VALU_DEP_2)
	v_fma_f64 v[14:15], -v[14:15], v[38:39], v[40:41]
	v_fma_f64 v[30:31], -v[30:31], v[42:43], v[36:37]
	s_delay_alu instid0(VALU_DEP_2) | instskip(SKIP_1) | instid1(VALU_DEP_2)
	v_div_fmas_f64 v[14:15], v[14:15], v[32:33], v[38:39]
	s_mov_b32 vcc_lo, s1
	v_div_fmas_f64 v[30:31], v[30:31], v[34:35], v[42:43]
	s_delay_alu instid0(VALU_DEP_2) | instskip(NEXT) | instid1(VALU_DEP_2)
	v_div_fixup_f64 v[12:13], v[14:15], v[6:7], v[12:13]
	v_div_fixup_f64 v[14:15], v[30:31], v[28:29], v[20:21]
	s_delay_alu instid0(VALU_DEP_2)
	v_fma_f64 v[20:21], -v[12:13], v[22:23], v[24:25]
	v_fma_f64 v[18:19], -v[12:13], v[18:19], v[8:9]
	ds_load_2addr_stride64_b64 v[6:9], v5 offset0:16 offset1:32
	v_mul_f64_e64 v[10:11], v[12:13], -v[10:11]
	v_add_nc_u32_e32 v5, -8, v3
	s_wait_dscnt 0x0
	v_mul_f64_e64 v[6:7], v[14:15], -v[6:7]
	v_fma_f64 v[8:9], -v[14:15], v[8:9], v[20:21]
	v_fma_f64 v[12:13], -v[14:15], v[26:27], v[18:19]
	v_add_nc_u32_e32 v14, 0x1f8, v3
	ds_store_b64 v3, v[8:9] offset:16376
	ds_store_b64 v5, v[10:11]
	ds_store_2addr_stride64_b64 v14, v[12:13], v[6:7] offset0:7 offset1:15
.LBB29_2:
	s_or_b32 exec_lo, exec_lo, s2
	v_cmp_gt_u32_e64 s1, 0x80, v0
	s_wait_dscnt 0x0
	s_barrier_signal -1
	s_barrier_wait -1
	s_and_saveexec_b32 s3, s1
	s_cbranch_execz .LBB29_4
; %bb.3:
	v_lshl_or_b32 v10, v17, 2, 1
	s_delay_alu instid0(VALU_DEP_1) | instskip(NEXT) | instid1(VALU_DEP_1)
	v_min_u32_e32 v10, 0x1ff, v10
	v_dual_lshlrev_b32 v3, 5, v17 :: v_dual_lshlrev_b32 v16, 3, v10
	s_delay_alu instid0(VALU_DEP_1)
	v_add_nc_u32_e32 v5, -8, v3
	v_add_nc_u32_e32 v6, 0x800, v3
	v_subrev_nc_u32_e32 v11, 24, v3
	ds_load_b64 v[14:15], v5
	ds_load_2addr_b64 v[6:9], v6 offset0:253 offset1:255
	ds_load_b64 v[26:27], v11
	v_add_nc_u32_e32 v11, 0x1800, v3
	ds_load_2addr_b64 v[10:13], v11 offset0:253 offset1:255
	ds_load_2addr_stride64_b64 v[18:21], v16 offset1:8
	s_wait_dscnt 0x3
	v_div_scale_f64 v[22:23], null, v[6:7], v[6:7], v[14:15]
	v_div_scale_f64 v[36:37], vcc_lo, v[14:15], v[6:7], v[14:15]
	s_wait_dscnt 0x0
	v_div_scale_f64 v[24:25], null, v[20:21], v[20:21], v[12:13]
	s_delay_alu instid0(VALU_DEP_3) | instskip(NEXT) | instid1(VALU_DEP_1)
	v_rcp_f64_e32 v[28:29], v[22:23]
	v_rcp_f64_e32 v[30:31], v[24:25]
	s_delay_alu instid0(TRANS32_DEP_2) | instskip(NEXT) | instid1(TRANS32_DEP_1)
	v_fma_f64 v[32:33], -v[22:23], v[28:29], 1.0
	v_fma_f64 v[34:35], -v[24:25], v[30:31], 1.0
	s_delay_alu instid0(VALU_DEP_2) | instskip(NEXT) | instid1(VALU_DEP_2)
	v_fmac_f64_e32 v[28:29], v[28:29], v[32:33]
	v_fmac_f64_e32 v[30:31], v[30:31], v[34:35]
	s_delay_alu instid0(VALU_DEP_2) | instskip(NEXT) | instid1(VALU_DEP_2)
	v_fma_f64 v[32:33], -v[22:23], v[28:29], 1.0
	v_fma_f64 v[34:35], -v[24:25], v[30:31], 1.0
	s_delay_alu instid0(VALU_DEP_2) | instskip(SKIP_1) | instid1(VALU_DEP_3)
	v_fmac_f64_e32 v[28:29], v[28:29], v[32:33]
	v_div_scale_f64 v[32:33], s2, v[12:13], v[20:21], v[12:13]
	v_fmac_f64_e32 v[30:31], v[30:31], v[34:35]
	s_delay_alu instid0(VALU_DEP_3) | instskip(NEXT) | instid1(VALU_DEP_2)
	v_mul_f64_e32 v[34:35], v[36:37], v[28:29]
	v_mul_f64_e32 v[38:39], v[32:33], v[30:31]
	s_delay_alu instid0(VALU_DEP_2) | instskip(NEXT) | instid1(VALU_DEP_2)
	v_fma_f64 v[22:23], -v[22:23], v[34:35], v[36:37]
	v_fma_f64 v[24:25], -v[24:25], v[38:39], v[32:33]
	s_delay_alu instid0(VALU_DEP_2) | instskip(SKIP_1) | instid1(VALU_DEP_2)
	v_div_fmas_f64 v[22:23], v[22:23], v[28:29], v[34:35]
	s_mov_b32 vcc_lo, s2
	v_div_fmas_f64 v[28:29], v[24:25], v[30:31], v[38:39]
	s_delay_alu instid0(VALU_DEP_2)
	v_div_fixup_f64 v[14:15], v[22:23], v[6:7], v[14:15]
	v_add_nc_u32_e32 v6, 0x3800, v3
	ds_load_2addr_b64 v[22:25], v6 offset0:253 offset1:255
	v_div_fixup_f64 v[12:13], v[28:29], v[20:21], v[12:13]
	s_wait_dscnt 0x0
	v_fma_f64 v[20:21], -v[14:15], v[22:23], v[24:25]
	v_fma_f64 v[10:11], -v[14:15], v[10:11], v[8:9]
	ds_load_2addr_stride64_b64 v[6:9], v16 offset0:16 offset1:32
	v_mul_f64_e64 v[14:15], v[14:15], -v[26:27]
	s_wait_dscnt 0x0
	v_mul_f64_e64 v[6:7], v[12:13], -v[6:7]
	v_fma_f64 v[8:9], -v[12:13], v[8:9], v[20:21]
	v_fma_f64 v[10:11], -v[12:13], v[18:19], v[10:11]
	v_add_nc_u32_e32 v12, 0x1f8, v3
	ds_store_b64 v3, v[8:9] offset:16376
	ds_store_b64 v5, v[14:15]
	ds_store_2addr_stride64_b64 v12, v[10:11], v[6:7] offset0:7 offset1:15
.LBB29_4:
	s_or_b32 exec_lo, exec_lo, s3
	v_cmp_gt_u32_e64 s2, 64, v0
	v_lshlrev_b32_e32 v14, 6, v17
	s_wait_dscnt 0x0
	s_barrier_signal -1
	s_barrier_wait -1
	s_and_saveexec_b32 s4, s2
	s_cbranch_execz .LBB29_6
; %bb.5:
	v_add_nc_u32_e32 v3, -8, v14
	v_add_nc_u32_e32 v5, 0x800, v14
	v_subrev_nc_u32_e32 v10, 40, v14
	ds_load_b64 v[22:23], v3
	ds_load_2addr_b64 v[6:9], v5 offset0:251 offset1:255
	v_lshl_or_b32 v5, v17, 3, 3
	ds_load_b64 v[26:27], v10
	v_add_nc_u32_e32 v10, 0x1800, v14
	v_min_u32_e32 v5, 0x1ff, v5
	s_delay_alu instid0(VALU_DEP_1)
	v_lshlrev_b32_e32 v5, 3, v5
	ds_load_2addr_b64 v[10:13], v10 offset0:251 offset1:255
	ds_load_2addr_stride64_b64 v[18:21], v5 offset1:8
	s_wait_dscnt 0x3
	v_div_scale_f64 v[24:25], null, v[6:7], v[6:7], v[22:23]
	v_div_scale_f64 v[38:39], vcc_lo, v[22:23], v[6:7], v[22:23]
	s_wait_dscnt 0x0
	v_div_scale_f64 v[28:29], null, v[20:21], v[20:21], v[12:13]
	s_delay_alu instid0(VALU_DEP_3) | instskip(NEXT) | instid1(VALU_DEP_1)
	v_rcp_f64_e32 v[30:31], v[24:25]
	v_rcp_f64_e32 v[32:33], v[28:29]
	s_delay_alu instid0(TRANS32_DEP_2) | instskip(NEXT) | instid1(TRANS32_DEP_1)
	v_fma_f64 v[34:35], -v[24:25], v[30:31], 1.0
	v_fma_f64 v[36:37], -v[28:29], v[32:33], 1.0
	s_delay_alu instid0(VALU_DEP_2) | instskip(NEXT) | instid1(VALU_DEP_2)
	v_fmac_f64_e32 v[30:31], v[30:31], v[34:35]
	v_fmac_f64_e32 v[32:33], v[32:33], v[36:37]
	s_delay_alu instid0(VALU_DEP_2) | instskip(NEXT) | instid1(VALU_DEP_2)
	v_fma_f64 v[34:35], -v[24:25], v[30:31], 1.0
	v_fma_f64 v[36:37], -v[28:29], v[32:33], 1.0
	s_delay_alu instid0(VALU_DEP_2) | instskip(SKIP_1) | instid1(VALU_DEP_3)
	v_fmac_f64_e32 v[30:31], v[30:31], v[34:35]
	v_div_scale_f64 v[34:35], s3, v[12:13], v[20:21], v[12:13]
	v_fmac_f64_e32 v[32:33], v[32:33], v[36:37]
	s_delay_alu instid0(VALU_DEP_3) | instskip(NEXT) | instid1(VALU_DEP_2)
	v_mul_f64_e32 v[36:37], v[38:39], v[30:31]
	v_mul_f64_e32 v[40:41], v[34:35], v[32:33]
	s_delay_alu instid0(VALU_DEP_2) | instskip(NEXT) | instid1(VALU_DEP_2)
	v_fma_f64 v[24:25], -v[24:25], v[36:37], v[38:39]
	v_fma_f64 v[28:29], -v[28:29], v[40:41], v[34:35]
	s_delay_alu instid0(VALU_DEP_2) | instskip(SKIP_1) | instid1(VALU_DEP_2)
	v_div_fmas_f64 v[24:25], v[24:25], v[30:31], v[36:37]
	s_mov_b32 vcc_lo, s3
	v_div_fmas_f64 v[28:29], v[28:29], v[32:33], v[40:41]
	s_delay_alu instid0(VALU_DEP_2)
	v_div_fixup_f64 v[30:31], v[24:25], v[6:7], v[22:23]
	v_add_nc_u32_e32 v6, 0x3800, v14
	ds_load_2addr_b64 v[22:25], v6 offset0:251 offset1:255
	v_div_fixup_f64 v[12:13], v[28:29], v[20:21], v[12:13]
	s_wait_dscnt 0x0
	v_fma_f64 v[20:21], -v[30:31], v[22:23], v[24:25]
	v_fma_f64 v[10:11], -v[30:31], v[10:11], v[8:9]
	ds_load_2addr_stride64_b64 v[6:9], v5 offset0:16 offset1:32
	v_mul_f64_e64 v[22:23], v[30:31], -v[26:27]
	v_add_nc_u32_e32 v5, 0x1f8, v14
	s_wait_dscnt 0x0
	v_mul_f64_e64 v[6:7], v[12:13], -v[6:7]
	v_fma_f64 v[8:9], -v[12:13], v[8:9], v[20:21]
	v_fma_f64 v[10:11], -v[12:13], v[18:19], v[10:11]
	ds_store_b64 v14, v[8:9] offset:16376
	ds_store_b64 v3, v[22:23]
	ds_store_2addr_stride64_b64 v5, v[10:11], v[6:7] offset0:7 offset1:15
.LBB29_6:
	s_or_b32 exec_lo, exec_lo, s4
	s_wait_dscnt 0x0
	s_barrier_signal -1
	s_barrier_wait -1
	s_and_saveexec_b32 s3, s2
	s_cbranch_execz .LBB29_8
; %bb.7:
	v_add_nc_u32_e32 v3, 0x1f8, v14
	v_add_nc_u32_e32 v5, -8, v14
	ds_load_2addr_stride64_b64 v[6:9], v3 offset0:7 offset1:15
	ds_load_b64 v[10:11], v5
	ds_load_b64 v[12:13], v14 offset:16376
	s_wait_dscnt 0x1
	ds_store_2addr_stride64_b64 v1, v[10:11], v[6:7] offset0:40 offset1:41
	s_wait_dscnt 0x1
	ds_store_2addr_stride64_b64 v1, v[8:9], v[12:13] offset0:42 offset1:44
.LBB29_8:
	s_or_b32 exec_lo, exec_lo, s3
	v_or_b32_e32 v5, 0x5000, v1
	v_add_nc_u32_e32 v16, 0x5400, v1
	v_add_nc_u32_e32 v15, 0x5200, v1
	v_or_b32_e32 v3, 0x5800, v1
	s_wait_dscnt 0x0
	s_barrier_signal -1
	s_barrier_wait -1
                                        ; implicit-def: $vgpr10_vgpr11
                                        ; implicit-def: $vgpr12_vgpr13
                                        ; implicit-def: $vgpr8_vgpr9
                                        ; implicit-def: $vgpr6_vgpr7
	s_and_saveexec_b32 s4, s2
	s_cbranch_execz .LBB29_10
; %bb.9:
	v_sub_nc_u32_e64 v6, v0, 1 clamp
	v_min_u32_e32 v10, 63, v17
	s_delay_alu instid0(VALU_DEP_2)
	v_lshlrev_b32_e32 v42, 3, v6
	ds_load_b64 v[18:19], v5
	ds_load_2addr_stride64_b64 v[6:9], v42 offset0:40 offset1:41
	ds_load_b64 v[22:23], v16
	ds_load_b64 v[24:25], v15
	;; [unrolled: 1-line block ×3, first 2 shown]
	s_wait_dscnt 0x3
	v_div_scale_f64 v[20:21], null, v[8:9], v[8:9], v[18:19]
	v_div_scale_f64 v[38:39], vcc_lo, v[18:19], v[8:9], v[18:19]
	v_lshlrev_b32_e32 v17, 3, v10
	ds_load_2addr_stride64_b64 v[10:13], v17 offset0:40 offset1:41
	s_wait_dscnt 0x0
	v_div_scale_f64 v[28:29], null, v[12:13], v[12:13], v[22:23]
	v_rcp_f64_e32 v[30:31], v[20:21]
	s_delay_alu instid0(VALU_DEP_1) | instskip(NEXT) | instid1(TRANS32_DEP_2)
	v_rcp_f64_e32 v[32:33], v[28:29]
	v_fma_f64 v[34:35], -v[20:21], v[30:31], 1.0
	s_delay_alu instid0(TRANS32_DEP_1) | instskip(NEXT) | instid1(VALU_DEP_2)
	v_fma_f64 v[36:37], -v[28:29], v[32:33], 1.0
	v_fmac_f64_e32 v[30:31], v[30:31], v[34:35]
	s_delay_alu instid0(VALU_DEP_2) | instskip(NEXT) | instid1(VALU_DEP_2)
	v_fmac_f64_e32 v[32:33], v[32:33], v[36:37]
	v_fma_f64 v[34:35], -v[20:21], v[30:31], 1.0
	s_delay_alu instid0(VALU_DEP_2) | instskip(NEXT) | instid1(VALU_DEP_2)
	v_fma_f64 v[36:37], -v[28:29], v[32:33], 1.0
	v_fmac_f64_e32 v[30:31], v[30:31], v[34:35]
	v_div_scale_f64 v[34:35], s3, v[22:23], v[12:13], v[22:23]
	s_delay_alu instid0(VALU_DEP_3) | instskip(NEXT) | instid1(VALU_DEP_3)
	v_fmac_f64_e32 v[32:33], v[32:33], v[36:37]
	v_mul_f64_e32 v[36:37], v[38:39], v[30:31]
	s_delay_alu instid0(VALU_DEP_2) | instskip(NEXT) | instid1(VALU_DEP_2)
	v_mul_f64_e32 v[40:41], v[34:35], v[32:33]
	v_fma_f64 v[20:21], -v[20:21], v[36:37], v[38:39]
	s_delay_alu instid0(VALU_DEP_2) | instskip(NEXT) | instid1(VALU_DEP_2)
	v_fma_f64 v[28:29], -v[28:29], v[40:41], v[34:35]
	v_div_fmas_f64 v[20:21], v[20:21], v[30:31], v[36:37]
	s_mov_b32 vcc_lo, s3
	s_delay_alu instid0(VALU_DEP_2) | instskip(NEXT) | instid1(VALU_DEP_2)
	v_div_fmas_f64 v[28:29], v[28:29], v[32:33], v[40:41]
	v_div_fixup_f64 v[8:9], v[20:21], v[8:9], v[18:19]
	ds_load_2addr_stride64_b64 v[18:21], v42 offset0:42 offset1:44
	v_div_fixup_f64 v[12:13], v[28:29], v[12:13], v[22:23]
	s_wait_dscnt 0x0
	v_fma_f64 v[22:23], -v[8:9], v[18:19], v[24:25]
	v_fma_f64 v[24:25], -v[8:9], v[20:21], v[26:27]
	ds_load_2addr_stride64_b64 v[18:21], v17 offset0:42 offset1:44
	v_mul_f64_e64 v[6:7], v[8:9], -v[6:7]
	v_fma_f64 v[8:9], -v[12:13], v[10:11], v[22:23]
	s_wait_dscnt 0x0
	v_fma_f64 v[10:11], -v[12:13], v[20:21], v[24:25]
	v_mul_f64_e64 v[12:13], v[12:13], -v[18:19]
.LBB29_10:
	s_or_b32 exec_lo, exec_lo, s4
	s_barrier_signal -1
	s_barrier_wait -1
	s_and_saveexec_b32 s3, s2
	s_cbranch_execz .LBB29_12
; %bb.11:
	ds_store_b64 v5, v[6:7]
	ds_store_b64 v15, v[8:9]
	;; [unrolled: 1-line block ×4, first 2 shown]
.LBB29_12:
	s_or_b32 exec_lo, exec_lo, s3
	s_wait_dscnt 0x0
	s_barrier_signal -1
	s_barrier_wait -1
	s_and_saveexec_b32 s4, s2
	s_cbranch_execz .LBB29_14
; %bb.13:
	v_sub_nc_u32_e64 v6, v0, 2 clamp
	v_min_u32_e32 v10, 61, v0
	s_delay_alu instid0(VALU_DEP_2)
	v_lshlrev_b32_e32 v17, 3, v6
	ds_load_b64 v[18:19], v5
	ds_load_2addr_stride64_b64 v[6:9], v17 offset0:40 offset1:41
	ds_load_b64 v[22:23], v16
	ds_load_b64 v[24:25], v15
	;; [unrolled: 1-line block ×3, first 2 shown]
	s_wait_dscnt 0x3
	v_div_scale_f64 v[20:21], null, v[8:9], v[8:9], v[18:19]
	v_div_scale_f64 v[38:39], vcc_lo, v[18:19], v[8:9], v[18:19]
	v_lshlrev_b32_e32 v10, 3, v10
	s_delay_alu instid0(VALU_DEP_1) | instskip(SKIP_4) | instid1(VALU_DEP_1)
	v_add_nc_u32_e32 v42, 16, v10
	ds_load_2addr_stride64_b64 v[10:13], v42 offset0:40 offset1:41
	v_rcp_f64_e32 v[30:31], v[20:21]
	s_wait_dscnt 0x0
	v_div_scale_f64 v[28:29], null, v[12:13], v[12:13], v[22:23]
	v_rcp_f64_e32 v[32:33], v[28:29]
	s_delay_alu instid0(TRANS32_DEP_2) | instskip(NEXT) | instid1(VALU_DEP_1)
	v_fma_f64 v[34:35], -v[20:21], v[30:31], 1.0
	v_fmac_f64_e32 v[30:31], v[30:31], v[34:35]
	s_delay_alu instid0(TRANS32_DEP_1) | instskip(NEXT) | instid1(VALU_DEP_2)
	v_fma_f64 v[36:37], -v[28:29], v[32:33], 1.0
	v_fma_f64 v[34:35], -v[20:21], v[30:31], 1.0
	s_delay_alu instid0(VALU_DEP_2) | instskip(NEXT) | instid1(VALU_DEP_2)
	v_fmac_f64_e32 v[32:33], v[32:33], v[36:37]
	v_fmac_f64_e32 v[30:31], v[30:31], v[34:35]
	v_div_scale_f64 v[34:35], s3, v[22:23], v[12:13], v[22:23]
	s_delay_alu instid0(VALU_DEP_3) | instskip(NEXT) | instid1(VALU_DEP_1)
	v_fma_f64 v[36:37], -v[28:29], v[32:33], 1.0
	v_fmac_f64_e32 v[32:33], v[32:33], v[36:37]
	s_delay_alu instid0(VALU_DEP_4) | instskip(NEXT) | instid1(VALU_DEP_2)
	v_mul_f64_e32 v[36:37], v[38:39], v[30:31]
	v_mul_f64_e32 v[40:41], v[34:35], v[32:33]
	s_delay_alu instid0(VALU_DEP_2) | instskip(NEXT) | instid1(VALU_DEP_2)
	v_fma_f64 v[20:21], -v[20:21], v[36:37], v[38:39]
	v_fma_f64 v[28:29], -v[28:29], v[40:41], v[34:35]
	s_delay_alu instid0(VALU_DEP_2) | instskip(SKIP_1) | instid1(VALU_DEP_2)
	v_div_fmas_f64 v[20:21], v[20:21], v[30:31], v[36:37]
	s_mov_b32 vcc_lo, s3
	v_div_fmas_f64 v[28:29], v[28:29], v[32:33], v[40:41]
	s_delay_alu instid0(VALU_DEP_2)
	v_div_fixup_f64 v[8:9], v[20:21], v[8:9], v[18:19]
	ds_load_2addr_stride64_b64 v[18:21], v17 offset0:42 offset1:44
	v_div_fixup_f64 v[12:13], v[28:29], v[12:13], v[22:23]
	s_wait_dscnt 0x0
	v_fma_f64 v[22:23], -v[8:9], v[18:19], v[24:25]
	v_fma_f64 v[24:25], -v[8:9], v[20:21], v[26:27]
	ds_load_2addr_stride64_b64 v[18:21], v42 offset0:42 offset1:44
	v_mul_f64_e64 v[6:7], v[8:9], -v[6:7]
	v_fma_f64 v[8:9], -v[12:13], v[10:11], v[22:23]
	s_wait_dscnt 0x0
	v_fma_f64 v[10:11], -v[12:13], v[20:21], v[24:25]
	v_mul_f64_e64 v[12:13], v[12:13], -v[18:19]
.LBB29_14:
	s_or_b32 exec_lo, exec_lo, s4
	s_barrier_signal -1
	s_barrier_wait -1
	s_and_saveexec_b32 s3, s2
	s_cbranch_execz .LBB29_16
; %bb.15:
	ds_store_b64 v5, v[6:7]
	ds_store_b64 v15, v[8:9]
	;; [unrolled: 1-line block ×4, first 2 shown]
.LBB29_16:
	s_or_b32 exec_lo, exec_lo, s3
	s_wait_dscnt 0x0
	s_barrier_signal -1
	s_barrier_wait -1
	s_and_saveexec_b32 s4, s2
	s_cbranch_execz .LBB29_18
; %bb.17:
	v_sub_nc_u32_e64 v6, v0, 4 clamp
	v_min_u32_e32 v10, 59, v0
	s_delay_alu instid0(VALU_DEP_2)
	v_lshlrev_b32_e32 v17, 3, v6
	ds_load_b64 v[18:19], v5
	ds_load_2addr_stride64_b64 v[6:9], v17 offset0:40 offset1:41
	ds_load_b64 v[22:23], v16
	ds_load_b64 v[24:25], v15
	;; [unrolled: 1-line block ×3, first 2 shown]
	s_wait_dscnt 0x3
	v_div_scale_f64 v[20:21], null, v[8:9], v[8:9], v[18:19]
	v_div_scale_f64 v[38:39], vcc_lo, v[18:19], v[8:9], v[18:19]
	v_lshlrev_b32_e32 v10, 3, v10
	s_delay_alu instid0(VALU_DEP_1) | instskip(SKIP_4) | instid1(VALU_DEP_1)
	v_add_nc_u32_e32 v42, 32, v10
	ds_load_2addr_stride64_b64 v[10:13], v42 offset0:40 offset1:41
	v_rcp_f64_e32 v[30:31], v[20:21]
	s_wait_dscnt 0x0
	v_div_scale_f64 v[28:29], null, v[12:13], v[12:13], v[22:23]
	v_rcp_f64_e32 v[32:33], v[28:29]
	s_delay_alu instid0(TRANS32_DEP_2) | instskip(NEXT) | instid1(VALU_DEP_1)
	v_fma_f64 v[34:35], -v[20:21], v[30:31], 1.0
	v_fmac_f64_e32 v[30:31], v[30:31], v[34:35]
	s_delay_alu instid0(TRANS32_DEP_1) | instskip(NEXT) | instid1(VALU_DEP_2)
	v_fma_f64 v[36:37], -v[28:29], v[32:33], 1.0
	v_fma_f64 v[34:35], -v[20:21], v[30:31], 1.0
	s_delay_alu instid0(VALU_DEP_2) | instskip(NEXT) | instid1(VALU_DEP_2)
	v_fmac_f64_e32 v[32:33], v[32:33], v[36:37]
	v_fmac_f64_e32 v[30:31], v[30:31], v[34:35]
	v_div_scale_f64 v[34:35], s3, v[22:23], v[12:13], v[22:23]
	s_delay_alu instid0(VALU_DEP_3) | instskip(NEXT) | instid1(VALU_DEP_1)
	v_fma_f64 v[36:37], -v[28:29], v[32:33], 1.0
	v_fmac_f64_e32 v[32:33], v[32:33], v[36:37]
	s_delay_alu instid0(VALU_DEP_4) | instskip(NEXT) | instid1(VALU_DEP_2)
	v_mul_f64_e32 v[36:37], v[38:39], v[30:31]
	v_mul_f64_e32 v[40:41], v[34:35], v[32:33]
	s_delay_alu instid0(VALU_DEP_2) | instskip(NEXT) | instid1(VALU_DEP_2)
	v_fma_f64 v[20:21], -v[20:21], v[36:37], v[38:39]
	v_fma_f64 v[28:29], -v[28:29], v[40:41], v[34:35]
	s_delay_alu instid0(VALU_DEP_2) | instskip(SKIP_1) | instid1(VALU_DEP_2)
	v_div_fmas_f64 v[20:21], v[20:21], v[30:31], v[36:37]
	s_mov_b32 vcc_lo, s3
	v_div_fmas_f64 v[28:29], v[28:29], v[32:33], v[40:41]
	s_delay_alu instid0(VALU_DEP_2)
	v_div_fixup_f64 v[8:9], v[20:21], v[8:9], v[18:19]
	ds_load_2addr_stride64_b64 v[18:21], v17 offset0:42 offset1:44
	v_div_fixup_f64 v[12:13], v[28:29], v[12:13], v[22:23]
	s_wait_dscnt 0x0
	v_fma_f64 v[22:23], -v[8:9], v[18:19], v[24:25]
	v_fma_f64 v[24:25], -v[8:9], v[20:21], v[26:27]
	ds_load_2addr_stride64_b64 v[18:21], v42 offset0:42 offset1:44
	v_mul_f64_e64 v[6:7], v[8:9], -v[6:7]
	v_fma_f64 v[8:9], -v[12:13], v[10:11], v[22:23]
	s_wait_dscnt 0x0
	v_fma_f64 v[10:11], -v[12:13], v[20:21], v[24:25]
	v_mul_f64_e64 v[12:13], v[12:13], -v[18:19]
.LBB29_18:
	s_or_b32 exec_lo, exec_lo, s4
	s_barrier_signal -1
	s_barrier_wait -1
	s_and_saveexec_b32 s3, s2
	s_cbranch_execz .LBB29_20
; %bb.19:
	ds_store_b64 v5, v[6:7]
	ds_store_b64 v15, v[8:9]
	;; [unrolled: 1-line block ×4, first 2 shown]
.LBB29_20:
	s_or_b32 exec_lo, exec_lo, s3
	s_wait_dscnt 0x0
	s_barrier_signal -1
	s_barrier_wait -1
	s_and_saveexec_b32 s4, s2
	s_cbranch_execz .LBB29_22
; %bb.21:
	v_sub_nc_u32_e64 v6, v0, 8 clamp
	v_min_u32_e32 v10, 55, v0
	s_delay_alu instid0(VALU_DEP_2)
	v_lshlrev_b32_e32 v17, 3, v6
	ds_load_b64 v[18:19], v5
	ds_load_2addr_stride64_b64 v[6:9], v17 offset0:40 offset1:41
	ds_load_b64 v[22:23], v16
	ds_load_b64 v[24:25], v15
	;; [unrolled: 1-line block ×3, first 2 shown]
	s_wait_dscnt 0x3
	v_div_scale_f64 v[20:21], null, v[8:9], v[8:9], v[18:19]
	v_div_scale_f64 v[38:39], vcc_lo, v[18:19], v[8:9], v[18:19]
	v_lshlrev_b32_e32 v10, 3, v10
	s_delay_alu instid0(VALU_DEP_1) | instskip(SKIP_4) | instid1(VALU_DEP_1)
	v_add_nc_u32_e32 v42, 64, v10
	ds_load_2addr_stride64_b64 v[10:13], v42 offset0:40 offset1:41
	v_rcp_f64_e32 v[30:31], v[20:21]
	s_wait_dscnt 0x0
	v_div_scale_f64 v[28:29], null, v[12:13], v[12:13], v[22:23]
	v_rcp_f64_e32 v[32:33], v[28:29]
	s_delay_alu instid0(TRANS32_DEP_2) | instskip(NEXT) | instid1(VALU_DEP_1)
	v_fma_f64 v[34:35], -v[20:21], v[30:31], 1.0
	v_fmac_f64_e32 v[30:31], v[30:31], v[34:35]
	s_delay_alu instid0(TRANS32_DEP_1) | instskip(NEXT) | instid1(VALU_DEP_2)
	v_fma_f64 v[36:37], -v[28:29], v[32:33], 1.0
	v_fma_f64 v[34:35], -v[20:21], v[30:31], 1.0
	s_delay_alu instid0(VALU_DEP_2) | instskip(NEXT) | instid1(VALU_DEP_2)
	v_fmac_f64_e32 v[32:33], v[32:33], v[36:37]
	v_fmac_f64_e32 v[30:31], v[30:31], v[34:35]
	v_div_scale_f64 v[34:35], s3, v[22:23], v[12:13], v[22:23]
	s_delay_alu instid0(VALU_DEP_3) | instskip(NEXT) | instid1(VALU_DEP_1)
	v_fma_f64 v[36:37], -v[28:29], v[32:33], 1.0
	v_fmac_f64_e32 v[32:33], v[32:33], v[36:37]
	s_delay_alu instid0(VALU_DEP_4) | instskip(NEXT) | instid1(VALU_DEP_2)
	v_mul_f64_e32 v[36:37], v[38:39], v[30:31]
	v_mul_f64_e32 v[40:41], v[34:35], v[32:33]
	s_delay_alu instid0(VALU_DEP_2) | instskip(NEXT) | instid1(VALU_DEP_2)
	v_fma_f64 v[20:21], -v[20:21], v[36:37], v[38:39]
	v_fma_f64 v[28:29], -v[28:29], v[40:41], v[34:35]
	s_delay_alu instid0(VALU_DEP_2) | instskip(SKIP_1) | instid1(VALU_DEP_2)
	v_div_fmas_f64 v[20:21], v[20:21], v[30:31], v[36:37]
	s_mov_b32 vcc_lo, s3
	v_div_fmas_f64 v[28:29], v[28:29], v[32:33], v[40:41]
	s_delay_alu instid0(VALU_DEP_2)
	v_div_fixup_f64 v[8:9], v[20:21], v[8:9], v[18:19]
	ds_load_2addr_stride64_b64 v[18:21], v17 offset0:42 offset1:44
	v_div_fixup_f64 v[12:13], v[28:29], v[12:13], v[22:23]
	s_wait_dscnt 0x0
	v_fma_f64 v[22:23], -v[8:9], v[18:19], v[24:25]
	v_fma_f64 v[24:25], -v[8:9], v[20:21], v[26:27]
	ds_load_2addr_stride64_b64 v[18:21], v42 offset0:42 offset1:44
	v_mul_f64_e64 v[6:7], v[8:9], -v[6:7]
	v_fma_f64 v[8:9], -v[12:13], v[10:11], v[22:23]
	s_wait_dscnt 0x0
	v_fma_f64 v[10:11], -v[12:13], v[20:21], v[24:25]
	v_mul_f64_e64 v[12:13], v[12:13], -v[18:19]
.LBB29_22:
	s_or_b32 exec_lo, exec_lo, s4
	s_barrier_signal -1
	s_barrier_wait -1
	s_and_saveexec_b32 s3, s2
	s_cbranch_execz .LBB29_24
; %bb.23:
	ds_store_b64 v5, v[6:7]
	ds_store_b64 v15, v[8:9]
	;; [unrolled: 1-line block ×4, first 2 shown]
.LBB29_24:
	s_or_b32 exec_lo, exec_lo, s3
	s_wait_dscnt 0x0
	s_barrier_signal -1
	s_barrier_wait -1
	s_and_saveexec_b32 s4, s2
	s_cbranch_execz .LBB29_26
; %bb.25:
	v_sub_nc_u32_e64 v6, v0, 16 clamp
	v_min_u32_e32 v10, 47, v0
	s_delay_alu instid0(VALU_DEP_2)
	v_lshlrev_b32_e32 v17, 3, v6
	ds_load_b64 v[18:19], v5
	ds_load_2addr_stride64_b64 v[6:9], v17 offset0:40 offset1:41
	ds_load_b64 v[22:23], v16
	ds_load_b64 v[24:25], v15
	;; [unrolled: 1-line block ×3, first 2 shown]
	s_wait_dscnt 0x3
	v_div_scale_f64 v[20:21], null, v[8:9], v[8:9], v[18:19]
	v_div_scale_f64 v[38:39], vcc_lo, v[18:19], v[8:9], v[18:19]
	v_lshlrev_b32_e32 v10, 3, v10
	s_delay_alu instid0(VALU_DEP_1) | instskip(SKIP_4) | instid1(VALU_DEP_1)
	v_add_nc_u32_e32 v42, 0x80, v10
	ds_load_2addr_stride64_b64 v[10:13], v42 offset0:40 offset1:41
	v_rcp_f64_e32 v[30:31], v[20:21]
	s_wait_dscnt 0x0
	v_div_scale_f64 v[28:29], null, v[12:13], v[12:13], v[22:23]
	v_rcp_f64_e32 v[32:33], v[28:29]
	s_delay_alu instid0(TRANS32_DEP_2) | instskip(NEXT) | instid1(VALU_DEP_1)
	v_fma_f64 v[34:35], -v[20:21], v[30:31], 1.0
	v_fmac_f64_e32 v[30:31], v[30:31], v[34:35]
	s_delay_alu instid0(TRANS32_DEP_1) | instskip(NEXT) | instid1(VALU_DEP_2)
	v_fma_f64 v[36:37], -v[28:29], v[32:33], 1.0
	v_fma_f64 v[34:35], -v[20:21], v[30:31], 1.0
	s_delay_alu instid0(VALU_DEP_2) | instskip(NEXT) | instid1(VALU_DEP_2)
	v_fmac_f64_e32 v[32:33], v[32:33], v[36:37]
	v_fmac_f64_e32 v[30:31], v[30:31], v[34:35]
	v_div_scale_f64 v[34:35], s3, v[22:23], v[12:13], v[22:23]
	s_delay_alu instid0(VALU_DEP_3) | instskip(NEXT) | instid1(VALU_DEP_1)
	v_fma_f64 v[36:37], -v[28:29], v[32:33], 1.0
	v_fmac_f64_e32 v[32:33], v[32:33], v[36:37]
	s_delay_alu instid0(VALU_DEP_4) | instskip(NEXT) | instid1(VALU_DEP_2)
	v_mul_f64_e32 v[36:37], v[38:39], v[30:31]
	v_mul_f64_e32 v[40:41], v[34:35], v[32:33]
	s_delay_alu instid0(VALU_DEP_2) | instskip(NEXT) | instid1(VALU_DEP_2)
	v_fma_f64 v[20:21], -v[20:21], v[36:37], v[38:39]
	v_fma_f64 v[28:29], -v[28:29], v[40:41], v[34:35]
	s_delay_alu instid0(VALU_DEP_2) | instskip(SKIP_1) | instid1(VALU_DEP_2)
	v_div_fmas_f64 v[20:21], v[20:21], v[30:31], v[36:37]
	s_mov_b32 vcc_lo, s3
	v_div_fmas_f64 v[28:29], v[28:29], v[32:33], v[40:41]
	s_delay_alu instid0(VALU_DEP_2)
	v_div_fixup_f64 v[8:9], v[20:21], v[8:9], v[18:19]
	ds_load_2addr_stride64_b64 v[18:21], v17 offset0:42 offset1:44
	v_div_fixup_f64 v[12:13], v[28:29], v[12:13], v[22:23]
	s_wait_dscnt 0x0
	v_fma_f64 v[22:23], -v[8:9], v[18:19], v[24:25]
	v_fma_f64 v[24:25], -v[8:9], v[20:21], v[26:27]
	ds_load_2addr_stride64_b64 v[18:21], v42 offset0:42 offset1:44
	v_mul_f64_e64 v[6:7], v[8:9], -v[6:7]
	v_fma_f64 v[8:9], -v[12:13], v[10:11], v[22:23]
	s_wait_dscnt 0x0
	v_fma_f64 v[10:11], -v[12:13], v[20:21], v[24:25]
	v_mul_f64_e64 v[12:13], v[12:13], -v[18:19]
.LBB29_26:
	s_or_b32 exec_lo, exec_lo, s4
	s_barrier_signal -1
	s_barrier_wait -1
	s_and_saveexec_b32 s3, s2
	s_cbranch_execz .LBB29_28
; %bb.27:
	ds_store_b64 v5, v[6:7]
	ds_store_b64 v15, v[8:9]
	;; [unrolled: 1-line block ×4, first 2 shown]
.LBB29_28:
	s_or_b32 exec_lo, exec_lo, s3
	s_delay_alu instid0(SALU_CYCLE_1)
	s_mov_b32 s3, exec_lo
	s_wait_dscnt 0x0
	s_barrier_signal -1
	s_barrier_wait -1
	v_cmpx_gt_u32_e32 32, v0
	s_cbranch_execz .LBB29_30
; %bb.29:
	ds_load_b64 v[16:17], v16
	ds_load_b64 v[18:19], v5 offset:256
	ds_load_2addr_b64 v[6:9], v15 offset1:32
	s_wait_dscnt 0x1
	v_mul_f64_e32 v[10:11], v[16:17], v[18:19]
	s_wait_dscnt 0x0
	s_delay_alu instid0(VALU_DEP_1) | instskip(NEXT) | instid1(VALU_DEP_1)
	v_fma_f64 v[20:21], v[8:9], v[6:7], -v[10:11]
	v_div_scale_f64 v[10:11], null, v[20:21], v[20:21], 1.0
	v_div_scale_f64 v[24:25], vcc_lo, 1.0, v[20:21], 1.0
	s_delay_alu instid0(VALU_DEP_2) | instskip(SKIP_1) | instid1(TRANS32_DEP_1)
	v_rcp_f64_e32 v[22:23], v[10:11]
	v_nop
	v_fma_f64 v[12:13], -v[10:11], v[22:23], 1.0
	s_delay_alu instid0(VALU_DEP_1) | instskip(NEXT) | instid1(VALU_DEP_1)
	v_fmac_f64_e32 v[22:23], v[22:23], v[12:13]
	v_fma_f64 v[12:13], -v[10:11], v[22:23], 1.0
	s_delay_alu instid0(VALU_DEP_1) | instskip(NEXT) | instid1(VALU_DEP_1)
	v_fmac_f64_e32 v[22:23], v[22:23], v[12:13]
	v_mul_f64_e32 v[26:27], v[24:25], v[22:23]
	s_delay_alu instid0(VALU_DEP_1)
	v_fma_f64 v[24:25], -v[10:11], v[26:27], v[24:25]
	ds_load_2addr_b64 v[10:13], v3 offset1:32
	v_add_nc_u32_e32 v3, 0x5000, v1
	s_wait_dscnt 0x0
	v_mul_f64_e32 v[16:17], v[16:17], v[12:13]
	v_mul_f64_e32 v[18:19], v[18:19], v[10:11]
	v_div_fmas_f64 v[22:23], v[24:25], v[22:23], v[26:27]
	s_delay_alu instid0(VALU_DEP_3) | instskip(NEXT) | instid1(VALU_DEP_3)
	v_fma_f64 v[8:9], v[8:9], v[10:11], -v[16:17]
	v_fma_f64 v[6:7], v[6:7], v[12:13], -v[18:19]
	s_delay_alu instid0(VALU_DEP_3) | instskip(NEXT) | instid1(VALU_DEP_1)
	v_div_fixup_f64 v[10:11], v[22:23], v[20:21], 1.0
	v_mul_f64_e32 v[8:9], v[10:11], v[8:9]
	s_delay_alu instid0(VALU_DEP_3)
	v_mul_f64_e32 v[6:7], v[10:11], v[6:7]
	ds_store_2addr_b64 v3, v[8:9], v[6:7] offset0:192 offset1:224
.LBB29_30:
	s_or_b32 exec_lo, exec_lo, s3
	v_dual_ashrrev_i32 v3, 31, v2 :: v_dual_mov_b32 v5, 0
	s_wait_dscnt 0x0
	s_barrier_signal -1
	s_barrier_wait -1
	s_and_saveexec_b32 s3, s2
	s_cbranch_execz .LBB29_32
; %bb.31:
	ds_load_b64 v[6:7], v1 offset:22016
	s_wait_dscnt 0x0
	ds_store_b64 v14, v[6:7] offset:12280
.LBB29_32:
	s_or_b32 exec_lo, exec_lo, s3
	s_wait_dscnt 0x0
	s_barrier_signal -1
	s_barrier_wait -1
	s_and_saveexec_b32 s3, s2
	s_cbranch_execz .LBB29_36
; %bb.33:
	v_dual_lshlrev_b32 v6, 6, v0 :: v_dual_lshlrev_b32 v8, 3, v1
	s_mov_b32 s2, exec_lo
	ds_load_b64 v[6:7], v6 offset:16408
	v_cmpx_ne_u32_e32 0, v0
	s_cbranch_execz .LBB29_35
; %bb.34:
	ds_load_b64 v[10:11], v8 offset:24
	ds_load_b64 v[12:13], v8 offset:12280
	s_wait_dscnt 0x0
	v_fma_f64 v[6:7], -v[10:11], v[12:13], v[6:7]
.LBB29_35:
	s_or_b32 exec_lo, exec_lo, s2
	v_add_nc_u32_e32 v9, 24, v8
	ds_load_b64 v[14:15], v8 offset:12344
	ds_load_2addr_stride64_b64 v[10:13], v9 offset0:8 offset1:16
	s_wait_dscnt 0x0
	v_fma_f64 v[6:7], -v[12:13], v[14:15], v[6:7]
	s_delay_alu instid0(VALU_DEP_1) | instskip(NEXT) | instid1(VALU_DEP_1)
	v_div_scale_f64 v[12:13], null, v[10:11], v[10:11], v[6:7]
	v_rcp_f64_e32 v[14:15], v[12:13]
	v_nop
	s_delay_alu instid0(TRANS32_DEP_1) | instskip(NEXT) | instid1(VALU_DEP_1)
	v_fma_f64 v[16:17], -v[12:13], v[14:15], 1.0
	v_fmac_f64_e32 v[14:15], v[14:15], v[16:17]
	s_delay_alu instid0(VALU_DEP_1) | instskip(NEXT) | instid1(VALU_DEP_1)
	v_fma_f64 v[16:17], -v[12:13], v[14:15], 1.0
	v_fmac_f64_e32 v[14:15], v[14:15], v[16:17]
	v_div_scale_f64 v[16:17], vcc_lo, v[6:7], v[10:11], v[6:7]
	s_delay_alu instid0(VALU_DEP_1) | instskip(NEXT) | instid1(VALU_DEP_1)
	v_mul_f64_e32 v[18:19], v[16:17], v[14:15]
	v_fma_f64 v[12:13], -v[12:13], v[18:19], v[16:17]
	s_delay_alu instid0(VALU_DEP_1) | instskip(NEXT) | instid1(VALU_DEP_1)
	v_div_fmas_f64 v[12:13], v[12:13], v[14:15], v[18:19]
	v_div_fixup_f64 v[6:7], v[12:13], v[10:11], v[6:7]
	ds_store_b64 v8, v[6:7] offset:12312
.LBB29_36:
	s_or_b32 exec_lo, exec_lo, s3
	v_lshl_add_u64 v[2:3], v[2:3], 3, s[10:11]
	v_lshl_add_u64 v[4:5], v[4:5], 3, s[10:11]
	s_wait_dscnt 0x0
	s_barrier_signal -1
	s_barrier_wait -1
	s_and_saveexec_b32 s2, s1
	s_cbranch_execz .LBB29_40
; %bb.37:
	v_dual_lshlrev_b32 v6, 5, v0 :: v_dual_lshlrev_b32 v8, 2, v0
	s_mov_b32 s1, exec_lo
	ds_load_b64 v[6:7], v6 offset:16392
	v_lshlrev_b32_e32 v8, 3, v8
	v_cmpx_ne_u32_e32 0, v0
	s_cbranch_execz .LBB29_39
; %bb.38:
	ds_load_b64 v[10:11], v8 offset:8
	ds_load_b64 v[12:13], v8 offset:12280
	s_wait_dscnt 0x0
	v_fma_f64 v[6:7], -v[10:11], v[12:13], v[6:7]
.LBB29_39:
	s_or_b32 exec_lo, exec_lo, s1
	s_delay_alu instid0(VALU_DEP_2) | instskip(SKIP_4) | instid1(VALU_DEP_1)
	v_add_nc_u32_e32 v9, 8, v8
	ds_load_b64 v[14:15], v8 offset:12312
	ds_load_2addr_stride64_b64 v[10:13], v9 offset0:8 offset1:16
	s_wait_dscnt 0x0
	v_fma_f64 v[6:7], -v[12:13], v[14:15], v[6:7]
	v_div_scale_f64 v[12:13], null, v[10:11], v[10:11], v[6:7]
	s_delay_alu instid0(VALU_DEP_1) | instskip(SKIP_1) | instid1(TRANS32_DEP_1)
	v_rcp_f64_e32 v[14:15], v[12:13]
	v_nop
	v_fma_f64 v[16:17], -v[12:13], v[14:15], 1.0
	s_delay_alu instid0(VALU_DEP_1) | instskip(NEXT) | instid1(VALU_DEP_1)
	v_fmac_f64_e32 v[14:15], v[14:15], v[16:17]
	v_fma_f64 v[16:17], -v[12:13], v[14:15], 1.0
	s_delay_alu instid0(VALU_DEP_1) | instskip(SKIP_1) | instid1(VALU_DEP_1)
	v_fmac_f64_e32 v[14:15], v[14:15], v[16:17]
	v_div_scale_f64 v[16:17], vcc_lo, v[6:7], v[10:11], v[6:7]
	v_mul_f64_e32 v[18:19], v[16:17], v[14:15]
	s_delay_alu instid0(VALU_DEP_1) | instskip(NEXT) | instid1(VALU_DEP_1)
	v_fma_f64 v[12:13], -v[12:13], v[18:19], v[16:17]
	v_div_fmas_f64 v[12:13], v[12:13], v[14:15], v[18:19]
	s_delay_alu instid0(VALU_DEP_1)
	v_div_fixup_f64 v[6:7], v[12:13], v[10:11], v[6:7]
	ds_store_b64 v8, v[6:7] offset:12296
.LBB29_40:
	s_or_b32 exec_lo, exec_lo, s2
	s_wait_dscnt 0x0
	s_barrier_signal -1
	s_barrier_wait -1
	s_and_saveexec_b32 s1, s0
	s_cbranch_execz .LBB29_44
; %bb.41:
	v_dual_lshlrev_b32 v6, 4, v0 :: v_dual_lshlrev_b32 v8, 1, v0
	v_cmp_ne_u32_e32 vcc_lo, 0, v0
	ds_load_b64 v[6:7], v6 offset:16384
	v_lshlrev_b32_e32 v0, 3, v8
	s_and_saveexec_b32 s0, vcc_lo
	s_cbranch_execz .LBB29_43
; %bb.42:
	ds_load_b64 v[8:9], v0
	ds_load_b64 v[10:11], v0 offset:12280
	s_wait_dscnt 0x0
	v_fma_f64 v[6:7], -v[8:9], v[10:11], v[6:7]
.LBB29_43:
	s_or_b32 exec_lo, exec_lo, s0
	ds_load_2addr_stride64_b64 v[8:11], v0 offset0:8 offset1:16
	ds_load_b64 v[12:13], v0 offset:12296
	s_wait_dscnt 0x0
	v_fma_f64 v[6:7], -v[10:11], v[12:13], v[6:7]
	s_delay_alu instid0(VALU_DEP_1) | instskip(NEXT) | instid1(VALU_DEP_1)
	v_div_scale_f64 v[10:11], null, v[8:9], v[8:9], v[6:7]
	v_rcp_f64_e32 v[12:13], v[10:11]
	v_nop
	s_delay_alu instid0(TRANS32_DEP_1) | instskip(NEXT) | instid1(VALU_DEP_1)
	v_fma_f64 v[14:15], -v[10:11], v[12:13], 1.0
	v_fmac_f64_e32 v[12:13], v[12:13], v[14:15]
	s_delay_alu instid0(VALU_DEP_1) | instskip(NEXT) | instid1(VALU_DEP_1)
	v_fma_f64 v[14:15], -v[10:11], v[12:13], 1.0
	v_fmac_f64_e32 v[12:13], v[12:13], v[14:15]
	v_div_scale_f64 v[14:15], vcc_lo, v[6:7], v[8:9], v[6:7]
	s_delay_alu instid0(VALU_DEP_1) | instskip(NEXT) | instid1(VALU_DEP_1)
	v_mul_f64_e32 v[16:17], v[14:15], v[12:13]
	v_fma_f64 v[10:11], -v[10:11], v[16:17], v[14:15]
	s_delay_alu instid0(VALU_DEP_1) | instskip(NEXT) | instid1(VALU_DEP_1)
	v_div_fmas_f64 v[10:11], v[10:11], v[12:13], v[16:17]
	v_div_fixup_f64 v[6:7], v[10:11], v[8:9], v[6:7]
	ds_store_b64 v0, v[6:7] offset:12288
.LBB29_44:
	s_or_b32 exec_lo, exec_lo, s1
	s_wait_dscnt 0x0
	s_barrier_signal -1
	s_barrier_wait -1
	ds_load_2addr_stride64_b64 v[6:9], v1 offset0:24 offset1:28
	s_wait_dscnt 0x0
	s_clause 0x1
	global_store_b64 v[2:3], v[6:7], off
	global_store_b64 v[4:5], v[8:9], off
	s_endpgm
	.section	.rodata,"a",@progbits
	.p2align	6, 0x0
	.amdhsa_kernel _ZN9rocsparseL51gtsv_nopivot_strided_batch_crpcr_pow2_shared_kernelILj256ELj64EdEEviiiPKT1_S3_S3_PS1_
		.amdhsa_group_segment_fixed_size 23040
		.amdhsa_private_segment_fixed_size 0
		.amdhsa_kernarg_size 48
		.amdhsa_user_sgpr_count 2
		.amdhsa_user_sgpr_dispatch_ptr 0
		.amdhsa_user_sgpr_queue_ptr 0
		.amdhsa_user_sgpr_kernarg_segment_ptr 1
		.amdhsa_user_sgpr_dispatch_id 0
		.amdhsa_user_sgpr_kernarg_preload_length 0
		.amdhsa_user_sgpr_kernarg_preload_offset 0
		.amdhsa_user_sgpr_private_segment_size 0
		.amdhsa_wavefront_size32 1
		.amdhsa_uses_dynamic_stack 0
		.amdhsa_enable_private_segment 0
		.amdhsa_system_sgpr_workgroup_id_x 1
		.amdhsa_system_sgpr_workgroup_id_y 0
		.amdhsa_system_sgpr_workgroup_id_z 0
		.amdhsa_system_sgpr_workgroup_info 0
		.amdhsa_system_vgpr_workitem_id 0
		.amdhsa_next_free_vgpr 44
		.amdhsa_next_free_sgpr 13
		.amdhsa_named_barrier_count 0
		.amdhsa_reserve_vcc 1
		.amdhsa_float_round_mode_32 0
		.amdhsa_float_round_mode_16_64 0
		.amdhsa_float_denorm_mode_32 3
		.amdhsa_float_denorm_mode_16_64 3
		.amdhsa_fp16_overflow 0
		.amdhsa_memory_ordered 1
		.amdhsa_forward_progress 1
		.amdhsa_inst_pref_size 38
		.amdhsa_round_robin_scheduling 0
		.amdhsa_exception_fp_ieee_invalid_op 0
		.amdhsa_exception_fp_denorm_src 0
		.amdhsa_exception_fp_ieee_div_zero 0
		.amdhsa_exception_fp_ieee_overflow 0
		.amdhsa_exception_fp_ieee_underflow 0
		.amdhsa_exception_fp_ieee_inexact 0
		.amdhsa_exception_int_div_zero 0
	.end_amdhsa_kernel
	.section	.text._ZN9rocsparseL51gtsv_nopivot_strided_batch_crpcr_pow2_shared_kernelILj256ELj64EdEEviiiPKT1_S3_S3_PS1_,"axG",@progbits,_ZN9rocsparseL51gtsv_nopivot_strided_batch_crpcr_pow2_shared_kernelILj256ELj64EdEEviiiPKT1_S3_S3_PS1_,comdat
.Lfunc_end29:
	.size	_ZN9rocsparseL51gtsv_nopivot_strided_batch_crpcr_pow2_shared_kernelILj256ELj64EdEEviiiPKT1_S3_S3_PS1_, .Lfunc_end29-_ZN9rocsparseL51gtsv_nopivot_strided_batch_crpcr_pow2_shared_kernelILj256ELj64EdEEviiiPKT1_S3_S3_PS1_
                                        ; -- End function
	.set _ZN9rocsparseL51gtsv_nopivot_strided_batch_crpcr_pow2_shared_kernelILj256ELj64EdEEviiiPKT1_S3_S3_PS1_.num_vgpr, 44
	.set _ZN9rocsparseL51gtsv_nopivot_strided_batch_crpcr_pow2_shared_kernelILj256ELj64EdEEviiiPKT1_S3_S3_PS1_.num_agpr, 0
	.set _ZN9rocsparseL51gtsv_nopivot_strided_batch_crpcr_pow2_shared_kernelILj256ELj64EdEEviiiPKT1_S3_S3_PS1_.numbered_sgpr, 13
	.set _ZN9rocsparseL51gtsv_nopivot_strided_batch_crpcr_pow2_shared_kernelILj256ELj64EdEEviiiPKT1_S3_S3_PS1_.num_named_barrier, 0
	.set _ZN9rocsparseL51gtsv_nopivot_strided_batch_crpcr_pow2_shared_kernelILj256ELj64EdEEviiiPKT1_S3_S3_PS1_.private_seg_size, 0
	.set _ZN9rocsparseL51gtsv_nopivot_strided_batch_crpcr_pow2_shared_kernelILj256ELj64EdEEviiiPKT1_S3_S3_PS1_.uses_vcc, 1
	.set _ZN9rocsparseL51gtsv_nopivot_strided_batch_crpcr_pow2_shared_kernelILj256ELj64EdEEviiiPKT1_S3_S3_PS1_.uses_flat_scratch, 0
	.set _ZN9rocsparseL51gtsv_nopivot_strided_batch_crpcr_pow2_shared_kernelILj256ELj64EdEEviiiPKT1_S3_S3_PS1_.has_dyn_sized_stack, 0
	.set _ZN9rocsparseL51gtsv_nopivot_strided_batch_crpcr_pow2_shared_kernelILj256ELj64EdEEviiiPKT1_S3_S3_PS1_.has_recursion, 0
	.set _ZN9rocsparseL51gtsv_nopivot_strided_batch_crpcr_pow2_shared_kernelILj256ELj64EdEEviiiPKT1_S3_S3_PS1_.has_indirect_call, 0
	.section	.AMDGPU.csdata,"",@progbits
; Kernel info:
; codeLenInByte = 4756
; TotalNumSgprs: 15
; NumVgprs: 44
; ScratchSize: 0
; MemoryBound: 0
; FloatMode: 240
; IeeeMode: 1
; LDSByteSize: 23040 bytes/workgroup (compile time only)
; SGPRBlocks: 0
; VGPRBlocks: 2
; NumSGPRsForWavesPerEU: 15
; NumVGPRsForWavesPerEU: 44
; NamedBarCnt: 0
; Occupancy: 16
; WaveLimiterHint : 0
; COMPUTE_PGM_RSRC2:SCRATCH_EN: 0
; COMPUTE_PGM_RSRC2:USER_SGPR: 2
; COMPUTE_PGM_RSRC2:TRAP_HANDLER: 0
; COMPUTE_PGM_RSRC2:TGID_X_EN: 1
; COMPUTE_PGM_RSRC2:TGID_Y_EN: 0
; COMPUTE_PGM_RSRC2:TGID_Z_EN: 0
; COMPUTE_PGM_RSRC2:TIDIG_COMP_CNT: 0
	.section	.text._ZN9rocsparseL44gtsv_nopivot_strided_batch_pcr_shared_kernelILj4EdEEviiiPKT0_S3_S3_PS1_,"axG",@progbits,_ZN9rocsparseL44gtsv_nopivot_strided_batch_pcr_shared_kernelILj4EdEEviiiPKT0_S3_S3_PS1_,comdat
	.globl	_ZN9rocsparseL44gtsv_nopivot_strided_batch_pcr_shared_kernelILj4EdEEviiiPKT0_S3_S3_PS1_ ; -- Begin function _ZN9rocsparseL44gtsv_nopivot_strided_batch_pcr_shared_kernelILj4EdEEviiiPKT0_S3_S3_PS1_
	.p2align	8
	.type	_ZN9rocsparseL44gtsv_nopivot_strided_batch_pcr_shared_kernelILj4EdEEviiiPKT0_S3_S3_PS1_,@function
_ZN9rocsparseL44gtsv_nopivot_strided_batch_pcr_shared_kernelILj4EdEEviiiPKT0_S3_S3_PS1_: ; @_ZN9rocsparseL44gtsv_nopivot_strided_batch_pcr_shared_kernelILj4EdEEviiiPKT0_S3_S3_PS1_
; %bb.0:
	s_clause 0x1
	s_load_b32 s2, s[0:1], 0x8
	s_load_b32 s3, s[0:1], 0x0
	s_bfe_u32 s4, ttmp6, 0x4000c
	s_and_b32 s5, ttmp6, 15
	s_add_co_i32 s4, s4, 1
	s_getreg_b32 s6, hwreg(HW_REG_IB_STS2, 6, 4)
	s_mul_i32 s4, ttmp9, s4
	v_mov_b64_e32 v[4:5], 0
	s_add_co_i32 s5, s5, s4
	s_cmp_eq_u32 s6, 0
	v_mov_b64_e32 v[2:3], 0
	s_cselect_b32 s4, ttmp9, s5
	s_wait_kmcnt 0x0
	v_mad_u32 v1, s2, s4, v0
	v_cmp_gt_i32_e64 s2, s3, v0
	s_and_saveexec_b32 s4, s2
	s_cbranch_execz .LBB30_2
; %bb.1:
	s_load_b64 s[6:7], s[0:1], 0x10
	s_wait_kmcnt 0x0
	global_load_b64 v[2:3], v1, s[6:7] scale_offset
.LBB30_2:
	s_wait_xcnt 0x0
	s_or_b32 exec_lo, exec_lo, s4
	v_lshlrev_b32_e32 v8, 3, v0
	s_wait_loadcnt 0x0
	ds_store_b64 v8, v[2:3]
	s_and_saveexec_b32 s4, s2
	s_cbranch_execz .LBB30_4
; %bb.3:
	s_load_b64 s[6:7], s[0:1], 0x18
	s_wait_kmcnt 0x0
	global_load_b64 v[4:5], v1, s[6:7] scale_offset
.LBB30_4:
	s_wait_xcnt 0x0
	s_or_b32 exec_lo, exec_lo, s4
	s_load_b64 s[4:5], s[0:1], 0x28
	v_mov_b64_e32 v[2:3], 0
	v_mov_b64_e32 v[6:7], 0
	s_wait_loadcnt 0x0
	ds_store_b64 v8, v[4:5] offset:32
	s_and_saveexec_b32 s6, s2
	s_cbranch_execz .LBB30_6
; %bb.5:
	s_wait_xcnt 0x0
	s_load_b64 s[0:1], s[0:1], 0x20
	s_wait_kmcnt 0x0
	global_load_b64 v[6:7], v1, s[0:1] scale_offset
.LBB30_6:
	s_wait_xcnt 0x0
	s_or_b32 exec_lo, exec_lo, s6
	v_or_b32_e32 v4, 32, v8
	v_or_b32_e32 v5, 64, v8
	s_wait_loadcnt 0x0
	ds_store_b64 v8, v[6:7] offset:64
	s_and_saveexec_b32 s0, s2
	s_cbranch_execz .LBB30_8
; %bb.7:
	s_wait_kmcnt 0x0
	global_load_b64 v[2:3], v1, s[4:5] scale_offset
.LBB30_8:
	s_wait_xcnt 0x0
	s_or_b32 exec_lo, exec_lo, s0
	v_sub_nc_u32_e64 v6, v0, 1 clamp
	s_wait_loadcnt 0x0
	ds_store_b64 v8, v[2:3] offset:128
	s_wait_dscnt 0x0
	; wave barrier
	s_add_co_i32 s0, s3, -1
	v_lshlrev_b32_e32 v9, 3, v6
	v_add_min_i32_e64 v14, v0, 1, s0
	ds_load_b64 v[2:3], v8
	ds_load_2addr_b64 v[10:13], v9 offset1:4
	ds_load_b64 v[6:7], v8 offset:128
	s_wait_dscnt 0x1
	v_div_scale_f64 v[18:19], null, v[12:13], v[12:13], v[2:3]
	v_div_scale_f64 v[34:35], vcc_lo, v[2:3], v[12:13], v[2:3]
	v_lshlrev_b32_e32 v38, 3, v14
	ds_load_2addr_b64 v[14:17], v38 offset1:4
	ds_load_b64 v[22:23], v5
	ds_load_b64 v[24:25], v4
	s_wait_dscnt 0x1
	v_div_scale_f64 v[20:21], null, v[16:17], v[16:17], v[22:23]
	v_rcp_f64_e32 v[26:27], v[18:19]
	s_delay_alu instid0(VALU_DEP_1) | instskip(NEXT) | instid1(TRANS32_DEP_2)
	v_rcp_f64_e32 v[28:29], v[20:21]
	v_fma_f64 v[30:31], -v[18:19], v[26:27], 1.0
	s_delay_alu instid0(TRANS32_DEP_1) | instskip(NEXT) | instid1(VALU_DEP_2)
	v_fma_f64 v[32:33], -v[20:21], v[28:29], 1.0
	v_fmac_f64_e32 v[26:27], v[26:27], v[30:31]
	s_delay_alu instid0(VALU_DEP_2) | instskip(NEXT) | instid1(VALU_DEP_2)
	v_fmac_f64_e32 v[28:29], v[28:29], v[32:33]
	v_fma_f64 v[30:31], -v[18:19], v[26:27], 1.0
	s_delay_alu instid0(VALU_DEP_2) | instskip(NEXT) | instid1(VALU_DEP_2)
	v_fma_f64 v[32:33], -v[20:21], v[28:29], 1.0
	v_fmac_f64_e32 v[26:27], v[26:27], v[30:31]
	v_div_scale_f64 v[30:31], s0, v[22:23], v[16:17], v[22:23]
	s_delay_alu instid0(VALU_DEP_3) | instskip(NEXT) | instid1(VALU_DEP_3)
	v_fmac_f64_e32 v[28:29], v[28:29], v[32:33]
	v_mul_f64_e32 v[32:33], v[34:35], v[26:27]
	s_delay_alu instid0(VALU_DEP_2) | instskip(NEXT) | instid1(VALU_DEP_2)
	v_mul_f64_e32 v[36:37], v[30:31], v[28:29]
	v_fma_f64 v[18:19], -v[18:19], v[32:33], v[34:35]
	s_delay_alu instid0(VALU_DEP_2) | instskip(NEXT) | instid1(VALU_DEP_2)
	v_fma_f64 v[20:21], -v[20:21], v[36:37], v[30:31]
	v_div_fmas_f64 v[18:19], v[18:19], v[26:27], v[32:33]
	s_mov_b32 vcc_lo, s0
	s_mov_b32 s0, exec_lo
	s_delay_alu instid0(VALU_DEP_2) | instskip(NEXT) | instid1(VALU_DEP_2)
	v_div_fmas_f64 v[26:27], v[20:21], v[28:29], v[36:37]
	v_div_fixup_f64 v[2:3], v[18:19], v[12:13], v[2:3]
	ds_load_2addr_b64 v[18:21], v9 offset0:8 offset1:16
	v_div_fixup_f64 v[12:13], v[26:27], v[16:17], v[22:23]
	s_wait_dscnt 0x0
	v_fma_f64 v[22:23], -v[2:3], v[18:19], v[24:25]
	v_fma_f64 v[6:7], -v[2:3], v[20:21], v[6:7]
	ds_load_2addr_b64 v[16:19], v38 offset0:8 offset1:16
	v_mul_f64_e64 v[2:3], v[2:3], -v[10:11]
	s_wait_dscnt 0x0
	; wave barrier
	v_mul_f64_e64 v[10:11], v[12:13], -v[16:17]
	v_fma_f64 v[14:15], -v[12:13], v[14:15], v[22:23]
	v_fma_f64 v[6:7], -v[12:13], v[18:19], v[6:7]
	ds_store_b64 v4, v[14:15]
	ds_store_b64 v8, v[6:7] offset:128
	ds_store_b64 v8, v[2:3]
	ds_store_b64 v5, v[10:11]
	s_wait_dscnt 0x0
	; wave barrier
	v_cmpx_gt_u32_e32 2, v0
	s_cbranch_execz .LBB30_14
; %bb.9:
	v_or_b32_e32 v6, 2, v0
	v_or_b32_e32 v7, 0x80, v8
	s_mov_b32 s1, exec_lo
                                        ; implicit-def: $vgpr2_vgpr3
	s_delay_alu instid0(VALU_DEP_2)
	v_cmpx_le_i32_e64 s3, v6
	s_xor_b32 s1, exec_lo, s1
	s_cbranch_execz .LBB30_11
; %bb.10:
	ds_load_b64 v[2:3], v7
	ds_load_b64 v[4:5], v4
	s_wait_dscnt 0x0
	v_div_scale_f64 v[6:7], null, v[4:5], v[4:5], v[2:3]
	s_delay_alu instid0(VALU_DEP_1) | instskip(SKIP_1) | instid1(TRANS32_DEP_1)
	v_rcp_f64_e32 v[10:11], v[6:7]
	v_nop
	v_fma_f64 v[12:13], -v[6:7], v[10:11], 1.0
	s_delay_alu instid0(VALU_DEP_1) | instskip(NEXT) | instid1(VALU_DEP_1)
	v_fmac_f64_e32 v[10:11], v[10:11], v[12:13]
	v_fma_f64 v[12:13], -v[6:7], v[10:11], 1.0
	s_delay_alu instid0(VALU_DEP_1) | instskip(SKIP_1) | instid1(VALU_DEP_1)
	v_fmac_f64_e32 v[10:11], v[10:11], v[12:13]
	v_div_scale_f64 v[12:13], vcc_lo, v[2:3], v[4:5], v[2:3]
	v_mul_f64_e32 v[14:15], v[12:13], v[10:11]
	s_delay_alu instid0(VALU_DEP_1) | instskip(NEXT) | instid1(VALU_DEP_1)
	v_fma_f64 v[6:7], -v[6:7], v[14:15], v[12:13]
	v_div_fmas_f64 v[6:7], v[6:7], v[10:11], v[14:15]
	s_delay_alu instid0(VALU_DEP_1)
	v_div_fixup_f64 v[2:3], v[6:7], v[4:5], v[2:3]
                                        ; implicit-def: $vgpr4
                                        ; implicit-def: $vgpr5
                                        ; implicit-def: $vgpr7
                                        ; implicit-def: $vgpr6
.LBB30_11:
	s_and_not1_saveexec_b32 s1, s1
	s_cbranch_execz .LBB30_13
; %bb.12:
	ds_load_b64 v[14:15], v5
	ds_load_b64 v[16:17], v8 offset:16
	ds_load_2addr_b64 v[2:5], v4 offset1:2
	v_mov_b32_e32 v0, v6
	s_wait_dscnt 0x1
	v_mul_f64_e32 v[10:11], v[14:15], v[16:17]
	s_wait_dscnt 0x0
	s_delay_alu instid0(VALU_DEP_1) | instskip(NEXT) | instid1(VALU_DEP_1)
	v_fma_f64 v[18:19], v[4:5], v[2:3], -v[10:11]
	v_div_scale_f64 v[10:11], null, v[18:19], v[18:19], 1.0
	v_div_scale_f64 v[22:23], vcc_lo, 1.0, v[18:19], 1.0
	s_delay_alu instid0(VALU_DEP_2) | instskip(SKIP_1) | instid1(TRANS32_DEP_1)
	v_rcp_f64_e32 v[20:21], v[10:11]
	v_nop
	v_fma_f64 v[12:13], -v[10:11], v[20:21], 1.0
	s_delay_alu instid0(VALU_DEP_1) | instskip(NEXT) | instid1(VALU_DEP_1)
	v_fmac_f64_e32 v[20:21], v[20:21], v[12:13]
	v_fma_f64 v[12:13], -v[10:11], v[20:21], 1.0
	s_delay_alu instid0(VALU_DEP_1) | instskip(NEXT) | instid1(VALU_DEP_1)
	v_fmac_f64_e32 v[20:21], v[20:21], v[12:13]
	v_mul_f64_e32 v[24:25], v[22:23], v[20:21]
	s_delay_alu instid0(VALU_DEP_1)
	v_fma_f64 v[22:23], -v[10:11], v[24:25], v[22:23]
	ds_load_2addr_b64 v[10:13], v7 offset1:2
	s_wait_dscnt 0x0
	v_mul_f64_e32 v[14:15], v[14:15], v[12:13]
	v_mul_f64_e32 v[16:17], v[16:17], v[10:11]
	v_div_fmas_f64 v[20:21], v[22:23], v[20:21], v[24:25]
	s_delay_alu instid0(VALU_DEP_3) | instskip(NEXT) | instid1(VALU_DEP_3)
	v_fma_f64 v[4:5], v[4:5], v[10:11], -v[14:15]
	v_fma_f64 v[2:3], v[2:3], v[12:13], -v[16:17]
	s_delay_alu instid0(VALU_DEP_3) | instskip(NEXT) | instid1(VALU_DEP_1)
	v_div_fixup_f64 v[18:19], v[20:21], v[18:19], 1.0
	v_mul_f64_e32 v[4:5], v[18:19], v[4:5]
	s_delay_alu instid0(VALU_DEP_3)
	v_mul_f64_e32 v[2:3], v[18:19], v[2:3]
	ds_store_b64 v8, v[4:5] offset:96
.LBB30_13:
	s_or_b32 exec_lo, exec_lo, s1
	v_lshlrev_b32_e32 v0, 3, v0
	ds_store_b64 v0, v[2:3] offset:96
.LBB30_14:
	s_or_b32 exec_lo, exec_lo, s0
	s_wait_dscnt 0x0
	; wave barrier
	s_and_saveexec_b32 s0, s2
	s_cbranch_execz .LBB30_16
; %bb.15:
	ds_load_b64 v[2:3], v8 offset:96
	s_wait_dscnt 0x0
	s_wait_kmcnt 0x0
	global_store_b64 v1, v[2:3], s[4:5] scale_offset
.LBB30_16:
	s_endpgm
	.section	.rodata,"a",@progbits
	.p2align	6, 0x0
	.amdhsa_kernel _ZN9rocsparseL44gtsv_nopivot_strided_batch_pcr_shared_kernelILj4EdEEviiiPKT0_S3_S3_PS1_
		.amdhsa_group_segment_fixed_size 160
		.amdhsa_private_segment_fixed_size 0
		.amdhsa_kernarg_size 48
		.amdhsa_user_sgpr_count 2
		.amdhsa_user_sgpr_dispatch_ptr 0
		.amdhsa_user_sgpr_queue_ptr 0
		.amdhsa_user_sgpr_kernarg_segment_ptr 1
		.amdhsa_user_sgpr_dispatch_id 0
		.amdhsa_user_sgpr_kernarg_preload_length 0
		.amdhsa_user_sgpr_kernarg_preload_offset 0
		.amdhsa_user_sgpr_private_segment_size 0
		.amdhsa_wavefront_size32 1
		.amdhsa_uses_dynamic_stack 0
		.amdhsa_enable_private_segment 0
		.amdhsa_system_sgpr_workgroup_id_x 1
		.amdhsa_system_sgpr_workgroup_id_y 0
		.amdhsa_system_sgpr_workgroup_id_z 0
		.amdhsa_system_sgpr_workgroup_info 0
		.amdhsa_system_vgpr_workitem_id 0
		.amdhsa_next_free_vgpr 39
		.amdhsa_next_free_sgpr 8
		.amdhsa_named_barrier_count 0
		.amdhsa_reserve_vcc 1
		.amdhsa_float_round_mode_32 0
		.amdhsa_float_round_mode_16_64 0
		.amdhsa_float_denorm_mode_32 3
		.amdhsa_float_denorm_mode_16_64 3
		.amdhsa_fp16_overflow 0
		.amdhsa_memory_ordered 1
		.amdhsa_forward_progress 1
		.amdhsa_inst_pref_size 9
		.amdhsa_round_robin_scheduling 0
		.amdhsa_exception_fp_ieee_invalid_op 0
		.amdhsa_exception_fp_denorm_src 0
		.amdhsa_exception_fp_ieee_div_zero 0
		.amdhsa_exception_fp_ieee_overflow 0
		.amdhsa_exception_fp_ieee_underflow 0
		.amdhsa_exception_fp_ieee_inexact 0
		.amdhsa_exception_int_div_zero 0
	.end_amdhsa_kernel
	.section	.text._ZN9rocsparseL44gtsv_nopivot_strided_batch_pcr_shared_kernelILj4EdEEviiiPKT0_S3_S3_PS1_,"axG",@progbits,_ZN9rocsparseL44gtsv_nopivot_strided_batch_pcr_shared_kernelILj4EdEEviiiPKT0_S3_S3_PS1_,comdat
.Lfunc_end30:
	.size	_ZN9rocsparseL44gtsv_nopivot_strided_batch_pcr_shared_kernelILj4EdEEviiiPKT0_S3_S3_PS1_, .Lfunc_end30-_ZN9rocsparseL44gtsv_nopivot_strided_batch_pcr_shared_kernelILj4EdEEviiiPKT0_S3_S3_PS1_
                                        ; -- End function
	.set _ZN9rocsparseL44gtsv_nopivot_strided_batch_pcr_shared_kernelILj4EdEEviiiPKT0_S3_S3_PS1_.num_vgpr, 39
	.set _ZN9rocsparseL44gtsv_nopivot_strided_batch_pcr_shared_kernelILj4EdEEviiiPKT0_S3_S3_PS1_.num_agpr, 0
	.set _ZN9rocsparseL44gtsv_nopivot_strided_batch_pcr_shared_kernelILj4EdEEviiiPKT0_S3_S3_PS1_.numbered_sgpr, 8
	.set _ZN9rocsparseL44gtsv_nopivot_strided_batch_pcr_shared_kernelILj4EdEEviiiPKT0_S3_S3_PS1_.num_named_barrier, 0
	.set _ZN9rocsparseL44gtsv_nopivot_strided_batch_pcr_shared_kernelILj4EdEEviiiPKT0_S3_S3_PS1_.private_seg_size, 0
	.set _ZN9rocsparseL44gtsv_nopivot_strided_batch_pcr_shared_kernelILj4EdEEviiiPKT0_S3_S3_PS1_.uses_vcc, 1
	.set _ZN9rocsparseL44gtsv_nopivot_strided_batch_pcr_shared_kernelILj4EdEEviiiPKT0_S3_S3_PS1_.uses_flat_scratch, 0
	.set _ZN9rocsparseL44gtsv_nopivot_strided_batch_pcr_shared_kernelILj4EdEEviiiPKT0_S3_S3_PS1_.has_dyn_sized_stack, 0
	.set _ZN9rocsparseL44gtsv_nopivot_strided_batch_pcr_shared_kernelILj4EdEEviiiPKT0_S3_S3_PS1_.has_recursion, 0
	.set _ZN9rocsparseL44gtsv_nopivot_strided_batch_pcr_shared_kernelILj4EdEEviiiPKT0_S3_S3_PS1_.has_indirect_call, 0
	.section	.AMDGPU.csdata,"",@progbits
; Kernel info:
; codeLenInByte = 1136
; TotalNumSgprs: 10
; NumVgprs: 39
; ScratchSize: 0
; MemoryBound: 0
; FloatMode: 240
; IeeeMode: 1
; LDSByteSize: 160 bytes/workgroup (compile time only)
; SGPRBlocks: 0
; VGPRBlocks: 2
; NumSGPRsForWavesPerEU: 10
; NumVGPRsForWavesPerEU: 39
; NamedBarCnt: 0
; Occupancy: 16
; WaveLimiterHint : 0
; COMPUTE_PGM_RSRC2:SCRATCH_EN: 0
; COMPUTE_PGM_RSRC2:USER_SGPR: 2
; COMPUTE_PGM_RSRC2:TRAP_HANDLER: 0
; COMPUTE_PGM_RSRC2:TGID_X_EN: 1
; COMPUTE_PGM_RSRC2:TGID_Y_EN: 0
; COMPUTE_PGM_RSRC2:TGID_Z_EN: 0
; COMPUTE_PGM_RSRC2:TIDIG_COMP_CNT: 0
	.section	.text._ZN9rocsparseL44gtsv_nopivot_strided_batch_pcr_shared_kernelILj8EdEEviiiPKT0_S3_S3_PS1_,"axG",@progbits,_ZN9rocsparseL44gtsv_nopivot_strided_batch_pcr_shared_kernelILj8EdEEviiiPKT0_S3_S3_PS1_,comdat
	.globl	_ZN9rocsparseL44gtsv_nopivot_strided_batch_pcr_shared_kernelILj8EdEEviiiPKT0_S3_S3_PS1_ ; -- Begin function _ZN9rocsparseL44gtsv_nopivot_strided_batch_pcr_shared_kernelILj8EdEEviiiPKT0_S3_S3_PS1_
	.p2align	8
	.type	_ZN9rocsparseL44gtsv_nopivot_strided_batch_pcr_shared_kernelILj8EdEEviiiPKT0_S3_S3_PS1_,@function
_ZN9rocsparseL44gtsv_nopivot_strided_batch_pcr_shared_kernelILj8EdEEviiiPKT0_S3_S3_PS1_: ; @_ZN9rocsparseL44gtsv_nopivot_strided_batch_pcr_shared_kernelILj8EdEEviiiPKT0_S3_S3_PS1_
; %bb.0:
	s_clause 0x1
	s_load_b32 s2, s[0:1], 0x8
	s_load_b32 s3, s[0:1], 0x0
	s_bfe_u32 s4, ttmp6, 0x4000c
	s_and_b32 s5, ttmp6, 15
	s_add_co_i32 s4, s4, 1
	s_getreg_b32 s6, hwreg(HW_REG_IB_STS2, 6, 4)
	s_mul_i32 s4, ttmp9, s4
	v_mov_b64_e32 v[4:5], 0
	s_add_co_i32 s5, s5, s4
	s_cmp_eq_u32 s6, 0
	v_mov_b64_e32 v[2:3], 0
	s_cselect_b32 s4, ttmp9, s5
	s_wait_kmcnt 0x0
	v_mad_u32 v1, s2, s4, v0
	v_cmp_gt_i32_e64 s2, s3, v0
	s_and_saveexec_b32 s4, s2
	s_cbranch_execz .LBB31_2
; %bb.1:
	s_load_b64 s[6:7], s[0:1], 0x10
	s_wait_kmcnt 0x0
	global_load_b64 v[2:3], v1, s[6:7] scale_offset
.LBB31_2:
	s_wait_xcnt 0x0
	s_or_b32 exec_lo, exec_lo, s4
	v_lshlrev_b32_e32 v8, 3, v0
	s_wait_loadcnt 0x0
	ds_store_b64 v8, v[2:3]
	s_and_saveexec_b32 s4, s2
	s_cbranch_execz .LBB31_4
; %bb.3:
	s_load_b64 s[6:7], s[0:1], 0x18
	s_wait_kmcnt 0x0
	global_load_b64 v[4:5], v1, s[6:7] scale_offset
.LBB31_4:
	s_wait_xcnt 0x0
	s_or_b32 exec_lo, exec_lo, s4
	s_load_b64 s[4:5], s[0:1], 0x28
	v_mov_b64_e32 v[2:3], 0
	v_mov_b64_e32 v[6:7], 0
	s_wait_loadcnt 0x0
	ds_store_b64 v8, v[4:5] offset:64
	s_and_saveexec_b32 s6, s2
	s_cbranch_execz .LBB31_6
; %bb.5:
	s_wait_xcnt 0x0
	s_load_b64 s[0:1], s[0:1], 0x20
	s_wait_kmcnt 0x0
	global_load_b64 v[6:7], v1, s[0:1] scale_offset
.LBB31_6:
	s_wait_xcnt 0x0
	s_or_b32 exec_lo, exec_lo, s6
	v_or_b32_e32 v4, 64, v8
	v_or_b32_e32 v5, 0x80, v8
	s_wait_loadcnt 0x0
	ds_store_b64 v8, v[6:7] offset:128
	s_and_saveexec_b32 s0, s2
	s_cbranch_execz .LBB31_8
; %bb.7:
	s_wait_kmcnt 0x0
	global_load_b64 v[2:3], v1, s[4:5] scale_offset
.LBB31_8:
	s_wait_xcnt 0x0
	s_or_b32 exec_lo, exec_lo, s0
	v_sub_nc_u32_e64 v6, v0, 1 clamp
	s_wait_loadcnt 0x0
	ds_store_b64 v8, v[2:3] offset:256
	s_wait_dscnt 0x0
	; wave barrier
	s_add_co_i32 s1, s3, -1
	v_lshlrev_b32_e32 v9, 3, v6
	v_add_min_i32_e64 v14, v0, 1, s1
	ds_load_b64 v[2:3], v8
	ds_load_2addr_b64 v[10:13], v9 offset1:8
	ds_load_b64 v[6:7], v8 offset:256
	s_wait_dscnt 0x1
	v_div_scale_f64 v[18:19], null, v[12:13], v[12:13], v[2:3]
	v_div_scale_f64 v[34:35], vcc_lo, v[2:3], v[12:13], v[2:3]
	v_lshlrev_b32_e32 v38, 3, v14
	ds_load_2addr_b64 v[14:17], v38 offset1:8
	ds_load_b64 v[22:23], v5
	ds_load_b64 v[24:25], v4
	s_wait_dscnt 0x1
	v_div_scale_f64 v[20:21], null, v[16:17], v[16:17], v[22:23]
	v_rcp_f64_e32 v[26:27], v[18:19]
	s_delay_alu instid0(VALU_DEP_1) | instskip(NEXT) | instid1(TRANS32_DEP_2)
	v_rcp_f64_e32 v[28:29], v[20:21]
	v_fma_f64 v[30:31], -v[18:19], v[26:27], 1.0
	s_delay_alu instid0(TRANS32_DEP_1) | instskip(NEXT) | instid1(VALU_DEP_2)
	v_fma_f64 v[32:33], -v[20:21], v[28:29], 1.0
	v_fmac_f64_e32 v[26:27], v[26:27], v[30:31]
	s_delay_alu instid0(VALU_DEP_2) | instskip(NEXT) | instid1(VALU_DEP_2)
	v_fmac_f64_e32 v[28:29], v[28:29], v[32:33]
	v_fma_f64 v[30:31], -v[18:19], v[26:27], 1.0
	s_delay_alu instid0(VALU_DEP_2) | instskip(NEXT) | instid1(VALU_DEP_2)
	v_fma_f64 v[32:33], -v[20:21], v[28:29], 1.0
	v_fmac_f64_e32 v[26:27], v[26:27], v[30:31]
	v_div_scale_f64 v[30:31], s0, v[22:23], v[16:17], v[22:23]
	s_delay_alu instid0(VALU_DEP_3) | instskip(NEXT) | instid1(VALU_DEP_3)
	v_fmac_f64_e32 v[28:29], v[28:29], v[32:33]
	v_mul_f64_e32 v[32:33], v[34:35], v[26:27]
	s_delay_alu instid0(VALU_DEP_2) | instskip(NEXT) | instid1(VALU_DEP_2)
	v_mul_f64_e32 v[36:37], v[30:31], v[28:29]
	v_fma_f64 v[18:19], -v[18:19], v[32:33], v[34:35]
	s_delay_alu instid0(VALU_DEP_2) | instskip(NEXT) | instid1(VALU_DEP_2)
	v_fma_f64 v[20:21], -v[20:21], v[36:37], v[30:31]
	v_div_fmas_f64 v[18:19], v[18:19], v[26:27], v[32:33]
	s_mov_b32 vcc_lo, s0
	s_delay_alu instid0(VALU_DEP_2) | instskip(NEXT) | instid1(VALU_DEP_2)
	v_div_fmas_f64 v[26:27], v[20:21], v[28:29], v[36:37]
	v_div_fixup_f64 v[2:3], v[18:19], v[12:13], v[2:3]
	ds_load_2addr_b64 v[18:21], v9 offset0:16 offset1:32
	v_sub_nc_u32_e64 v9, v0, 2 clamp
	s_delay_alu instid0(VALU_DEP_1)
	v_lshlrev_b32_e32 v9, 3, v9
	v_div_fixup_f64 v[12:13], v[26:27], v[16:17], v[22:23]
	s_wait_dscnt 0x0
	v_fma_f64 v[22:23], -v[2:3], v[18:19], v[24:25]
	v_fma_f64 v[6:7], -v[2:3], v[20:21], v[6:7]
	ds_load_2addr_b64 v[16:19], v38 offset0:16 offset1:32
	v_mul_f64_e64 v[2:3], v[2:3], -v[10:11]
	s_wait_dscnt 0x0
	; wave barrier
	v_mul_f64_e64 v[10:11], v[12:13], -v[16:17]
	v_fma_f64 v[14:15], -v[12:13], v[14:15], v[22:23]
	v_fma_f64 v[6:7], -v[12:13], v[18:19], v[6:7]
	ds_store_b64 v4, v[14:15]
	ds_store_b64 v8, v[6:7] offset:256
	ds_store_b64 v8, v[2:3]
	ds_store_b64 v5, v[10:11]
	s_wait_dscnt 0x0
	; wave barrier
	ds_load_b64 v[2:3], v8
	ds_load_2addr_b64 v[10:13], v9 offset1:8
	v_add_min_i32_e64 v14, v0, 2, s1
	ds_load_b64 v[6:7], v8 offset:256
	v_lshlrev_b32_e32 v38, 3, v14
	ds_load_2addr_b64 v[14:17], v38 offset1:8
	ds_load_b64 v[22:23], v5
	ds_load_b64 v[24:25], v4
	s_wait_dscnt 0x4
	v_div_scale_f64 v[18:19], null, v[12:13], v[12:13], v[2:3]
	v_div_scale_f64 v[34:35], vcc_lo, v[2:3], v[12:13], v[2:3]
	s_wait_dscnt 0x1
	v_div_scale_f64 v[20:21], null, v[16:17], v[16:17], v[22:23]
	s_delay_alu instid0(VALU_DEP_3) | instskip(NEXT) | instid1(VALU_DEP_1)
	v_rcp_f64_e32 v[26:27], v[18:19]
	v_rcp_f64_e32 v[28:29], v[20:21]
	s_delay_alu instid0(TRANS32_DEP_2) | instskip(NEXT) | instid1(TRANS32_DEP_1)
	v_fma_f64 v[30:31], -v[18:19], v[26:27], 1.0
	v_fma_f64 v[32:33], -v[20:21], v[28:29], 1.0
	s_delay_alu instid0(VALU_DEP_2) | instskip(NEXT) | instid1(VALU_DEP_2)
	v_fmac_f64_e32 v[26:27], v[26:27], v[30:31]
	v_fmac_f64_e32 v[28:29], v[28:29], v[32:33]
	s_delay_alu instid0(VALU_DEP_2) | instskip(NEXT) | instid1(VALU_DEP_2)
	v_fma_f64 v[30:31], -v[18:19], v[26:27], 1.0
	v_fma_f64 v[32:33], -v[20:21], v[28:29], 1.0
	s_delay_alu instid0(VALU_DEP_2) | instskip(SKIP_1) | instid1(VALU_DEP_3)
	v_fmac_f64_e32 v[26:27], v[26:27], v[30:31]
	v_div_scale_f64 v[30:31], s0, v[22:23], v[16:17], v[22:23]
	v_fmac_f64_e32 v[28:29], v[28:29], v[32:33]
	s_delay_alu instid0(VALU_DEP_3) | instskip(NEXT) | instid1(VALU_DEP_2)
	v_mul_f64_e32 v[32:33], v[34:35], v[26:27]
	v_mul_f64_e32 v[36:37], v[30:31], v[28:29]
	s_delay_alu instid0(VALU_DEP_2) | instskip(NEXT) | instid1(VALU_DEP_2)
	v_fma_f64 v[18:19], -v[18:19], v[32:33], v[34:35]
	v_fma_f64 v[20:21], -v[20:21], v[36:37], v[30:31]
	s_delay_alu instid0(VALU_DEP_2) | instskip(SKIP_2) | instid1(VALU_DEP_2)
	v_div_fmas_f64 v[18:19], v[18:19], v[26:27], v[32:33]
	s_mov_b32 vcc_lo, s0
	s_mov_b32 s0, exec_lo
	v_div_fmas_f64 v[26:27], v[20:21], v[28:29], v[36:37]
	s_delay_alu instid0(VALU_DEP_2)
	v_div_fixup_f64 v[2:3], v[18:19], v[12:13], v[2:3]
	ds_load_2addr_b64 v[18:21], v9 offset0:16 offset1:32
	v_div_fixup_f64 v[12:13], v[26:27], v[16:17], v[22:23]
	s_wait_dscnt 0x0
	v_fma_f64 v[22:23], -v[2:3], v[18:19], v[24:25]
	v_fma_f64 v[6:7], -v[2:3], v[20:21], v[6:7]
	ds_load_2addr_b64 v[16:19], v38 offset0:16 offset1:32
	v_mul_f64_e64 v[2:3], v[2:3], -v[10:11]
	s_wait_dscnt 0x0
	; wave barrier
	v_mul_f64_e64 v[10:11], v[12:13], -v[16:17]
	v_fma_f64 v[14:15], -v[12:13], v[14:15], v[22:23]
	v_fma_f64 v[6:7], -v[12:13], v[18:19], v[6:7]
	ds_store_b64 v4, v[14:15]
	ds_store_b64 v8, v[6:7] offset:256
	ds_store_b64 v8, v[2:3]
	ds_store_b64 v5, v[10:11]
	s_wait_dscnt 0x0
	; wave barrier
	v_cmpx_gt_u32_e32 4, v0
	s_cbranch_execz .LBB31_14
; %bb.9:
	v_or_b32_e32 v6, 4, v0
	v_or_b32_e32 v7, 0x100, v8
	s_mov_b32 s1, exec_lo
                                        ; implicit-def: $vgpr2_vgpr3
	s_delay_alu instid0(VALU_DEP_2)
	v_cmpx_le_i32_e64 s3, v6
	s_xor_b32 s1, exec_lo, s1
	s_cbranch_execz .LBB31_11
; %bb.10:
	ds_load_b64 v[2:3], v7
	ds_load_b64 v[4:5], v4
	s_wait_dscnt 0x0
	v_div_scale_f64 v[6:7], null, v[4:5], v[4:5], v[2:3]
	s_delay_alu instid0(VALU_DEP_1) | instskip(SKIP_1) | instid1(TRANS32_DEP_1)
	v_rcp_f64_e32 v[10:11], v[6:7]
	v_nop
	v_fma_f64 v[12:13], -v[6:7], v[10:11], 1.0
	s_delay_alu instid0(VALU_DEP_1) | instskip(NEXT) | instid1(VALU_DEP_1)
	v_fmac_f64_e32 v[10:11], v[10:11], v[12:13]
	v_fma_f64 v[12:13], -v[6:7], v[10:11], 1.0
	s_delay_alu instid0(VALU_DEP_1) | instskip(SKIP_1) | instid1(VALU_DEP_1)
	v_fmac_f64_e32 v[10:11], v[10:11], v[12:13]
	v_div_scale_f64 v[12:13], vcc_lo, v[2:3], v[4:5], v[2:3]
	v_mul_f64_e32 v[14:15], v[12:13], v[10:11]
	s_delay_alu instid0(VALU_DEP_1) | instskip(NEXT) | instid1(VALU_DEP_1)
	v_fma_f64 v[6:7], -v[6:7], v[14:15], v[12:13]
	v_div_fmas_f64 v[6:7], v[6:7], v[10:11], v[14:15]
	s_delay_alu instid0(VALU_DEP_1)
	v_div_fixup_f64 v[2:3], v[6:7], v[4:5], v[2:3]
                                        ; implicit-def: $vgpr4
                                        ; implicit-def: $vgpr5
                                        ; implicit-def: $vgpr7
                                        ; implicit-def: $vgpr6
.LBB31_11:
	s_and_not1_saveexec_b32 s1, s1
	s_cbranch_execz .LBB31_13
; %bb.12:
	ds_load_b64 v[14:15], v5
	ds_load_b64 v[16:17], v8 offset:32
	ds_load_2addr_b64 v[2:5], v4 offset1:4
	v_mov_b32_e32 v0, v6
	s_wait_dscnt 0x1
	v_mul_f64_e32 v[10:11], v[14:15], v[16:17]
	s_wait_dscnt 0x0
	s_delay_alu instid0(VALU_DEP_1) | instskip(NEXT) | instid1(VALU_DEP_1)
	v_fma_f64 v[18:19], v[4:5], v[2:3], -v[10:11]
	v_div_scale_f64 v[10:11], null, v[18:19], v[18:19], 1.0
	v_div_scale_f64 v[22:23], vcc_lo, 1.0, v[18:19], 1.0
	s_delay_alu instid0(VALU_DEP_2) | instskip(SKIP_1) | instid1(TRANS32_DEP_1)
	v_rcp_f64_e32 v[20:21], v[10:11]
	v_nop
	v_fma_f64 v[12:13], -v[10:11], v[20:21], 1.0
	s_delay_alu instid0(VALU_DEP_1) | instskip(NEXT) | instid1(VALU_DEP_1)
	v_fmac_f64_e32 v[20:21], v[20:21], v[12:13]
	v_fma_f64 v[12:13], -v[10:11], v[20:21], 1.0
	s_delay_alu instid0(VALU_DEP_1) | instskip(NEXT) | instid1(VALU_DEP_1)
	v_fmac_f64_e32 v[20:21], v[20:21], v[12:13]
	v_mul_f64_e32 v[24:25], v[22:23], v[20:21]
	s_delay_alu instid0(VALU_DEP_1)
	v_fma_f64 v[22:23], -v[10:11], v[24:25], v[22:23]
	ds_load_2addr_b64 v[10:13], v7 offset1:4
	s_wait_dscnt 0x0
	v_mul_f64_e32 v[14:15], v[14:15], v[12:13]
	v_mul_f64_e32 v[16:17], v[16:17], v[10:11]
	v_div_fmas_f64 v[20:21], v[22:23], v[20:21], v[24:25]
	s_delay_alu instid0(VALU_DEP_3) | instskip(NEXT) | instid1(VALU_DEP_3)
	v_fma_f64 v[4:5], v[4:5], v[10:11], -v[14:15]
	v_fma_f64 v[2:3], v[2:3], v[12:13], -v[16:17]
	s_delay_alu instid0(VALU_DEP_3) | instskip(NEXT) | instid1(VALU_DEP_1)
	v_div_fixup_f64 v[18:19], v[20:21], v[18:19], 1.0
	v_mul_f64_e32 v[4:5], v[18:19], v[4:5]
	s_delay_alu instid0(VALU_DEP_3)
	v_mul_f64_e32 v[2:3], v[18:19], v[2:3]
	ds_store_b64 v8, v[4:5] offset:192
.LBB31_13:
	s_or_b32 exec_lo, exec_lo, s1
	v_lshlrev_b32_e32 v0, 3, v0
	ds_store_b64 v0, v[2:3] offset:192
.LBB31_14:
	s_or_b32 exec_lo, exec_lo, s0
	s_wait_dscnt 0x0
	; wave barrier
	s_and_saveexec_b32 s0, s2
	s_cbranch_execz .LBB31_16
; %bb.15:
	ds_load_b64 v[2:3], v8 offset:192
	s_wait_dscnt 0x0
	s_wait_kmcnt 0x0
	global_store_b64 v1, v[2:3], s[4:5] scale_offset
.LBB31_16:
	s_endpgm
	.section	.rodata,"a",@progbits
	.p2align	6, 0x0
	.amdhsa_kernel _ZN9rocsparseL44gtsv_nopivot_strided_batch_pcr_shared_kernelILj8EdEEviiiPKT0_S3_S3_PS1_
		.amdhsa_group_segment_fixed_size 320
		.amdhsa_private_segment_fixed_size 0
		.amdhsa_kernarg_size 48
		.amdhsa_user_sgpr_count 2
		.amdhsa_user_sgpr_dispatch_ptr 0
		.amdhsa_user_sgpr_queue_ptr 0
		.amdhsa_user_sgpr_kernarg_segment_ptr 1
		.amdhsa_user_sgpr_dispatch_id 0
		.amdhsa_user_sgpr_kernarg_preload_length 0
		.amdhsa_user_sgpr_kernarg_preload_offset 0
		.amdhsa_user_sgpr_private_segment_size 0
		.amdhsa_wavefront_size32 1
		.amdhsa_uses_dynamic_stack 0
		.amdhsa_enable_private_segment 0
		.amdhsa_system_sgpr_workgroup_id_x 1
		.amdhsa_system_sgpr_workgroup_id_y 0
		.amdhsa_system_sgpr_workgroup_id_z 0
		.amdhsa_system_sgpr_workgroup_info 0
		.amdhsa_system_vgpr_workitem_id 0
		.amdhsa_next_free_vgpr 39
		.amdhsa_next_free_sgpr 8
		.amdhsa_named_barrier_count 0
		.amdhsa_reserve_vcc 1
		.amdhsa_float_round_mode_32 0
		.amdhsa_float_round_mode_16_64 0
		.amdhsa_float_denorm_mode_32 3
		.amdhsa_float_denorm_mode_16_64 3
		.amdhsa_fp16_overflow 0
		.amdhsa_memory_ordered 1
		.amdhsa_forward_progress 1
		.amdhsa_inst_pref_size 12
		.amdhsa_round_robin_scheduling 0
		.amdhsa_exception_fp_ieee_invalid_op 0
		.amdhsa_exception_fp_denorm_src 0
		.amdhsa_exception_fp_ieee_div_zero 0
		.amdhsa_exception_fp_ieee_overflow 0
		.amdhsa_exception_fp_ieee_underflow 0
		.amdhsa_exception_fp_ieee_inexact 0
		.amdhsa_exception_int_div_zero 0
	.end_amdhsa_kernel
	.section	.text._ZN9rocsparseL44gtsv_nopivot_strided_batch_pcr_shared_kernelILj8EdEEviiiPKT0_S3_S3_PS1_,"axG",@progbits,_ZN9rocsparseL44gtsv_nopivot_strided_batch_pcr_shared_kernelILj8EdEEviiiPKT0_S3_S3_PS1_,comdat
.Lfunc_end31:
	.size	_ZN9rocsparseL44gtsv_nopivot_strided_batch_pcr_shared_kernelILj8EdEEviiiPKT0_S3_S3_PS1_, .Lfunc_end31-_ZN9rocsparseL44gtsv_nopivot_strided_batch_pcr_shared_kernelILj8EdEEviiiPKT0_S3_S3_PS1_
                                        ; -- End function
	.set _ZN9rocsparseL44gtsv_nopivot_strided_batch_pcr_shared_kernelILj8EdEEviiiPKT0_S3_S3_PS1_.num_vgpr, 39
	.set _ZN9rocsparseL44gtsv_nopivot_strided_batch_pcr_shared_kernelILj8EdEEviiiPKT0_S3_S3_PS1_.num_agpr, 0
	.set _ZN9rocsparseL44gtsv_nopivot_strided_batch_pcr_shared_kernelILj8EdEEviiiPKT0_S3_S3_PS1_.numbered_sgpr, 8
	.set _ZN9rocsparseL44gtsv_nopivot_strided_batch_pcr_shared_kernelILj8EdEEviiiPKT0_S3_S3_PS1_.num_named_barrier, 0
	.set _ZN9rocsparseL44gtsv_nopivot_strided_batch_pcr_shared_kernelILj8EdEEviiiPKT0_S3_S3_PS1_.private_seg_size, 0
	.set _ZN9rocsparseL44gtsv_nopivot_strided_batch_pcr_shared_kernelILj8EdEEviiiPKT0_S3_S3_PS1_.uses_vcc, 1
	.set _ZN9rocsparseL44gtsv_nopivot_strided_batch_pcr_shared_kernelILj8EdEEviiiPKT0_S3_S3_PS1_.uses_flat_scratch, 0
	.set _ZN9rocsparseL44gtsv_nopivot_strided_batch_pcr_shared_kernelILj8EdEEviiiPKT0_S3_S3_PS1_.has_dyn_sized_stack, 0
	.set _ZN9rocsparseL44gtsv_nopivot_strided_batch_pcr_shared_kernelILj8EdEEviiiPKT0_S3_S3_PS1_.has_recursion, 0
	.set _ZN9rocsparseL44gtsv_nopivot_strided_batch_pcr_shared_kernelILj8EdEEviiiPKT0_S3_S3_PS1_.has_indirect_call, 0
	.section	.AMDGPU.csdata,"",@progbits
; Kernel info:
; codeLenInByte = 1516
; TotalNumSgprs: 10
; NumVgprs: 39
; ScratchSize: 0
; MemoryBound: 0
; FloatMode: 240
; IeeeMode: 1
; LDSByteSize: 320 bytes/workgroup (compile time only)
; SGPRBlocks: 0
; VGPRBlocks: 2
; NumSGPRsForWavesPerEU: 10
; NumVGPRsForWavesPerEU: 39
; NamedBarCnt: 0
; Occupancy: 16
; WaveLimiterHint : 0
; COMPUTE_PGM_RSRC2:SCRATCH_EN: 0
; COMPUTE_PGM_RSRC2:USER_SGPR: 2
; COMPUTE_PGM_RSRC2:TRAP_HANDLER: 0
; COMPUTE_PGM_RSRC2:TGID_X_EN: 1
; COMPUTE_PGM_RSRC2:TGID_Y_EN: 0
; COMPUTE_PGM_RSRC2:TGID_Z_EN: 0
; COMPUTE_PGM_RSRC2:TIDIG_COMP_CNT: 0
	.section	.text._ZN9rocsparseL44gtsv_nopivot_strided_batch_pcr_shared_kernelILj16EdEEviiiPKT0_S3_S3_PS1_,"axG",@progbits,_ZN9rocsparseL44gtsv_nopivot_strided_batch_pcr_shared_kernelILj16EdEEviiiPKT0_S3_S3_PS1_,comdat
	.globl	_ZN9rocsparseL44gtsv_nopivot_strided_batch_pcr_shared_kernelILj16EdEEviiiPKT0_S3_S3_PS1_ ; -- Begin function _ZN9rocsparseL44gtsv_nopivot_strided_batch_pcr_shared_kernelILj16EdEEviiiPKT0_S3_S3_PS1_
	.p2align	8
	.type	_ZN9rocsparseL44gtsv_nopivot_strided_batch_pcr_shared_kernelILj16EdEEviiiPKT0_S3_S3_PS1_,@function
_ZN9rocsparseL44gtsv_nopivot_strided_batch_pcr_shared_kernelILj16EdEEviiiPKT0_S3_S3_PS1_: ; @_ZN9rocsparseL44gtsv_nopivot_strided_batch_pcr_shared_kernelILj16EdEEviiiPKT0_S3_S3_PS1_
; %bb.0:
	s_clause 0x1
	s_load_b32 s2, s[0:1], 0x8
	s_load_b32 s3, s[0:1], 0x0
	s_bfe_u32 s4, ttmp6, 0x4000c
	s_and_b32 s5, ttmp6, 15
	s_add_co_i32 s4, s4, 1
	s_getreg_b32 s6, hwreg(HW_REG_IB_STS2, 6, 4)
	s_mul_i32 s4, ttmp9, s4
	v_mov_b64_e32 v[4:5], 0
	s_add_co_i32 s5, s5, s4
	s_cmp_eq_u32 s6, 0
	v_mov_b64_e32 v[2:3], 0
	s_cselect_b32 s4, ttmp9, s5
	s_wait_kmcnt 0x0
	v_mad_u32 v1, s2, s4, v0
	v_cmp_gt_i32_e64 s2, s3, v0
	s_and_saveexec_b32 s4, s2
	s_cbranch_execz .LBB32_2
; %bb.1:
	s_load_b64 s[6:7], s[0:1], 0x10
	s_wait_kmcnt 0x0
	global_load_b64 v[2:3], v1, s[6:7] scale_offset
.LBB32_2:
	s_wait_xcnt 0x0
	s_or_b32 exec_lo, exec_lo, s4
	v_lshlrev_b32_e32 v8, 3, v0
	s_wait_loadcnt 0x0
	ds_store_b64 v8, v[2:3]
	s_and_saveexec_b32 s4, s2
	s_cbranch_execz .LBB32_4
; %bb.3:
	s_load_b64 s[6:7], s[0:1], 0x18
	s_wait_kmcnt 0x0
	global_load_b64 v[4:5], v1, s[6:7] scale_offset
.LBB32_4:
	s_wait_xcnt 0x0
	s_or_b32 exec_lo, exec_lo, s4
	s_load_b64 s[4:5], s[0:1], 0x28
	v_mov_b64_e32 v[2:3], 0
	v_mov_b64_e32 v[6:7], 0
	s_wait_loadcnt 0x0
	ds_store_b64 v8, v[4:5] offset:128
	s_and_saveexec_b32 s6, s2
	s_cbranch_execz .LBB32_6
; %bb.5:
	s_wait_xcnt 0x0
	s_load_b64 s[0:1], s[0:1], 0x20
	s_wait_kmcnt 0x0
	global_load_b64 v[6:7], v1, s[0:1] scale_offset
.LBB32_6:
	s_wait_xcnt 0x0
	s_or_b32 exec_lo, exec_lo, s6
	v_or_b32_e32 v4, 0x80, v8
	v_or_b32_e32 v5, 0x100, v8
	s_wait_loadcnt 0x0
	ds_store_b64 v8, v[6:7] offset:256
	s_and_saveexec_b32 s0, s2
	s_cbranch_execz .LBB32_8
; %bb.7:
	s_wait_kmcnt 0x0
	global_load_b64 v[2:3], v1, s[4:5] scale_offset
.LBB32_8:
	s_wait_xcnt 0x0
	s_or_b32 exec_lo, exec_lo, s0
	v_sub_nc_u32_e64 v6, v0, 1 clamp
	s_wait_loadcnt 0x0
	ds_store_b64 v8, v[2:3] offset:512
	s_wait_dscnt 0x0
	; wave barrier
	s_add_co_i32 s1, s3, -1
	v_lshlrev_b32_e32 v9, 3, v6
	v_add_min_i32_e64 v14, v0, 1, s1
	ds_load_b64 v[2:3], v8
	ds_load_2addr_b64 v[10:13], v9 offset1:16
	ds_load_b64 v[6:7], v8 offset:512
	s_wait_dscnt 0x1
	v_div_scale_f64 v[18:19], null, v[12:13], v[12:13], v[2:3]
	v_div_scale_f64 v[34:35], vcc_lo, v[2:3], v[12:13], v[2:3]
	v_lshlrev_b32_e32 v38, 3, v14
	ds_load_2addr_b64 v[14:17], v38 offset1:16
	ds_load_b64 v[22:23], v5
	ds_load_b64 v[24:25], v4
	s_wait_dscnt 0x1
	v_div_scale_f64 v[20:21], null, v[16:17], v[16:17], v[22:23]
	v_rcp_f64_e32 v[26:27], v[18:19]
	s_delay_alu instid0(VALU_DEP_1) | instskip(NEXT) | instid1(TRANS32_DEP_2)
	v_rcp_f64_e32 v[28:29], v[20:21]
	v_fma_f64 v[30:31], -v[18:19], v[26:27], 1.0
	s_delay_alu instid0(TRANS32_DEP_1) | instskip(NEXT) | instid1(VALU_DEP_2)
	v_fma_f64 v[32:33], -v[20:21], v[28:29], 1.0
	v_fmac_f64_e32 v[26:27], v[26:27], v[30:31]
	s_delay_alu instid0(VALU_DEP_2) | instskip(NEXT) | instid1(VALU_DEP_2)
	v_fmac_f64_e32 v[28:29], v[28:29], v[32:33]
	v_fma_f64 v[30:31], -v[18:19], v[26:27], 1.0
	s_delay_alu instid0(VALU_DEP_2) | instskip(NEXT) | instid1(VALU_DEP_2)
	v_fma_f64 v[32:33], -v[20:21], v[28:29], 1.0
	v_fmac_f64_e32 v[26:27], v[26:27], v[30:31]
	v_div_scale_f64 v[30:31], s0, v[22:23], v[16:17], v[22:23]
	s_delay_alu instid0(VALU_DEP_3) | instskip(NEXT) | instid1(VALU_DEP_3)
	v_fmac_f64_e32 v[28:29], v[28:29], v[32:33]
	v_mul_f64_e32 v[32:33], v[34:35], v[26:27]
	s_delay_alu instid0(VALU_DEP_2) | instskip(NEXT) | instid1(VALU_DEP_2)
	v_mul_f64_e32 v[36:37], v[30:31], v[28:29]
	v_fma_f64 v[18:19], -v[18:19], v[32:33], v[34:35]
	s_delay_alu instid0(VALU_DEP_2) | instskip(NEXT) | instid1(VALU_DEP_2)
	v_fma_f64 v[20:21], -v[20:21], v[36:37], v[30:31]
	v_div_fmas_f64 v[18:19], v[18:19], v[26:27], v[32:33]
	s_mov_b32 vcc_lo, s0
	s_delay_alu instid0(VALU_DEP_2) | instskip(NEXT) | instid1(VALU_DEP_2)
	v_div_fmas_f64 v[26:27], v[20:21], v[28:29], v[36:37]
	v_div_fixup_f64 v[2:3], v[18:19], v[12:13], v[2:3]
	ds_load_2addr_b64 v[18:21], v9 offset0:32 offset1:64
	v_sub_nc_u32_e64 v9, v0, 2 clamp
	s_delay_alu instid0(VALU_DEP_1)
	v_lshlrev_b32_e32 v9, 3, v9
	v_div_fixup_f64 v[12:13], v[26:27], v[16:17], v[22:23]
	s_wait_dscnt 0x0
	v_fma_f64 v[22:23], -v[2:3], v[18:19], v[24:25]
	v_fma_f64 v[6:7], -v[2:3], v[20:21], v[6:7]
	ds_load_2addr_b64 v[16:19], v38 offset0:32 offset1:64
	v_mul_f64_e64 v[2:3], v[2:3], -v[10:11]
	s_wait_dscnt 0x0
	; wave barrier
	v_mul_f64_e64 v[10:11], v[12:13], -v[16:17]
	v_fma_f64 v[14:15], -v[12:13], v[14:15], v[22:23]
	v_fma_f64 v[6:7], -v[12:13], v[18:19], v[6:7]
	ds_store_b64 v4, v[14:15]
	ds_store_b64 v8, v[6:7] offset:512
	ds_store_b64 v8, v[2:3]
	ds_store_b64 v5, v[10:11]
	s_wait_dscnt 0x0
	; wave barrier
	ds_load_b64 v[2:3], v8
	ds_load_2addr_b64 v[10:13], v9 offset1:16
	v_add_min_i32_e64 v14, v0, 2, s1
	ds_load_b64 v[6:7], v8 offset:512
	v_lshlrev_b32_e32 v38, 3, v14
	ds_load_2addr_b64 v[14:17], v38 offset1:16
	ds_load_b64 v[22:23], v5
	ds_load_b64 v[24:25], v4
	s_wait_dscnt 0x4
	v_div_scale_f64 v[18:19], null, v[12:13], v[12:13], v[2:3]
	v_div_scale_f64 v[34:35], vcc_lo, v[2:3], v[12:13], v[2:3]
	s_wait_dscnt 0x1
	v_div_scale_f64 v[20:21], null, v[16:17], v[16:17], v[22:23]
	s_delay_alu instid0(VALU_DEP_3) | instskip(NEXT) | instid1(VALU_DEP_1)
	v_rcp_f64_e32 v[26:27], v[18:19]
	v_rcp_f64_e32 v[28:29], v[20:21]
	s_delay_alu instid0(TRANS32_DEP_2) | instskip(NEXT) | instid1(TRANS32_DEP_1)
	v_fma_f64 v[30:31], -v[18:19], v[26:27], 1.0
	v_fma_f64 v[32:33], -v[20:21], v[28:29], 1.0
	s_delay_alu instid0(VALU_DEP_2) | instskip(NEXT) | instid1(VALU_DEP_2)
	v_fmac_f64_e32 v[26:27], v[26:27], v[30:31]
	v_fmac_f64_e32 v[28:29], v[28:29], v[32:33]
	s_delay_alu instid0(VALU_DEP_2) | instskip(NEXT) | instid1(VALU_DEP_2)
	v_fma_f64 v[30:31], -v[18:19], v[26:27], 1.0
	v_fma_f64 v[32:33], -v[20:21], v[28:29], 1.0
	s_delay_alu instid0(VALU_DEP_2) | instskip(SKIP_1) | instid1(VALU_DEP_3)
	v_fmac_f64_e32 v[26:27], v[26:27], v[30:31]
	v_div_scale_f64 v[30:31], s0, v[22:23], v[16:17], v[22:23]
	v_fmac_f64_e32 v[28:29], v[28:29], v[32:33]
	s_delay_alu instid0(VALU_DEP_3) | instskip(NEXT) | instid1(VALU_DEP_2)
	v_mul_f64_e32 v[32:33], v[34:35], v[26:27]
	v_mul_f64_e32 v[36:37], v[30:31], v[28:29]
	s_delay_alu instid0(VALU_DEP_2) | instskip(NEXT) | instid1(VALU_DEP_2)
	v_fma_f64 v[18:19], -v[18:19], v[32:33], v[34:35]
	v_fma_f64 v[20:21], -v[20:21], v[36:37], v[30:31]
	s_delay_alu instid0(VALU_DEP_2) | instskip(SKIP_1) | instid1(VALU_DEP_2)
	v_div_fmas_f64 v[18:19], v[18:19], v[26:27], v[32:33]
	s_mov_b32 vcc_lo, s0
	v_div_fmas_f64 v[26:27], v[20:21], v[28:29], v[36:37]
	s_delay_alu instid0(VALU_DEP_2) | instskip(SKIP_2) | instid1(VALU_DEP_1)
	v_div_fixup_f64 v[2:3], v[18:19], v[12:13], v[2:3]
	ds_load_2addr_b64 v[18:21], v9 offset0:32 offset1:64
	v_sub_nc_u32_e64 v9, v0, 4 clamp
	v_lshlrev_b32_e32 v9, 3, v9
	v_div_fixup_f64 v[12:13], v[26:27], v[16:17], v[22:23]
	s_wait_dscnt 0x0
	v_fma_f64 v[22:23], -v[2:3], v[18:19], v[24:25]
	v_fma_f64 v[6:7], -v[2:3], v[20:21], v[6:7]
	ds_load_2addr_b64 v[16:19], v38 offset0:32 offset1:64
	v_mul_f64_e64 v[2:3], v[2:3], -v[10:11]
	s_wait_dscnt 0x0
	; wave barrier
	v_mul_f64_e64 v[10:11], v[12:13], -v[16:17]
	v_fma_f64 v[14:15], -v[12:13], v[14:15], v[22:23]
	v_fma_f64 v[6:7], -v[12:13], v[18:19], v[6:7]
	ds_store_b64 v4, v[14:15]
	ds_store_b64 v8, v[6:7] offset:512
	ds_store_b64 v8, v[2:3]
	ds_store_b64 v5, v[10:11]
	s_wait_dscnt 0x0
	; wave barrier
	ds_load_b64 v[2:3], v8
	ds_load_2addr_b64 v[10:13], v9 offset1:16
	v_add_min_i32_e64 v14, v0, 4, s1
	ds_load_b64 v[6:7], v8 offset:512
	v_lshlrev_b32_e32 v38, 3, v14
	ds_load_2addr_b64 v[14:17], v38 offset1:16
	ds_load_b64 v[22:23], v5
	ds_load_b64 v[24:25], v4
	s_wait_dscnt 0x4
	v_div_scale_f64 v[18:19], null, v[12:13], v[12:13], v[2:3]
	v_div_scale_f64 v[34:35], vcc_lo, v[2:3], v[12:13], v[2:3]
	s_wait_dscnt 0x1
	v_div_scale_f64 v[20:21], null, v[16:17], v[16:17], v[22:23]
	s_delay_alu instid0(VALU_DEP_3) | instskip(NEXT) | instid1(VALU_DEP_1)
	v_rcp_f64_e32 v[26:27], v[18:19]
	v_rcp_f64_e32 v[28:29], v[20:21]
	s_delay_alu instid0(TRANS32_DEP_2) | instskip(NEXT) | instid1(TRANS32_DEP_1)
	v_fma_f64 v[30:31], -v[18:19], v[26:27], 1.0
	v_fma_f64 v[32:33], -v[20:21], v[28:29], 1.0
	s_delay_alu instid0(VALU_DEP_2) | instskip(NEXT) | instid1(VALU_DEP_2)
	v_fmac_f64_e32 v[26:27], v[26:27], v[30:31]
	v_fmac_f64_e32 v[28:29], v[28:29], v[32:33]
	s_delay_alu instid0(VALU_DEP_2) | instskip(NEXT) | instid1(VALU_DEP_2)
	v_fma_f64 v[30:31], -v[18:19], v[26:27], 1.0
	v_fma_f64 v[32:33], -v[20:21], v[28:29], 1.0
	s_delay_alu instid0(VALU_DEP_2) | instskip(SKIP_1) | instid1(VALU_DEP_3)
	v_fmac_f64_e32 v[26:27], v[26:27], v[30:31]
	v_div_scale_f64 v[30:31], s0, v[22:23], v[16:17], v[22:23]
	v_fmac_f64_e32 v[28:29], v[28:29], v[32:33]
	s_delay_alu instid0(VALU_DEP_3) | instskip(NEXT) | instid1(VALU_DEP_2)
	v_mul_f64_e32 v[32:33], v[34:35], v[26:27]
	v_mul_f64_e32 v[36:37], v[30:31], v[28:29]
	s_delay_alu instid0(VALU_DEP_2) | instskip(NEXT) | instid1(VALU_DEP_2)
	v_fma_f64 v[18:19], -v[18:19], v[32:33], v[34:35]
	v_fma_f64 v[20:21], -v[20:21], v[36:37], v[30:31]
	s_delay_alu instid0(VALU_DEP_2) | instskip(SKIP_2) | instid1(VALU_DEP_2)
	v_div_fmas_f64 v[18:19], v[18:19], v[26:27], v[32:33]
	s_mov_b32 vcc_lo, s0
	s_mov_b32 s0, exec_lo
	v_div_fmas_f64 v[26:27], v[20:21], v[28:29], v[36:37]
	s_delay_alu instid0(VALU_DEP_2)
	v_div_fixup_f64 v[2:3], v[18:19], v[12:13], v[2:3]
	ds_load_2addr_b64 v[18:21], v9 offset0:32 offset1:64
	v_div_fixup_f64 v[12:13], v[26:27], v[16:17], v[22:23]
	s_wait_dscnt 0x0
	v_fma_f64 v[22:23], -v[2:3], v[18:19], v[24:25]
	v_fma_f64 v[6:7], -v[2:3], v[20:21], v[6:7]
	ds_load_2addr_b64 v[16:19], v38 offset0:32 offset1:64
	v_mul_f64_e64 v[2:3], v[2:3], -v[10:11]
	s_wait_dscnt 0x0
	; wave barrier
	v_mul_f64_e64 v[10:11], v[12:13], -v[16:17]
	v_fma_f64 v[14:15], -v[12:13], v[14:15], v[22:23]
	v_fma_f64 v[6:7], -v[12:13], v[18:19], v[6:7]
	ds_store_b64 v4, v[14:15]
	ds_store_b64 v8, v[6:7] offset:512
	ds_store_b64 v8, v[2:3]
	ds_store_b64 v5, v[10:11]
	s_wait_dscnt 0x0
	; wave barrier
	v_cmpx_gt_u32_e32 8, v0
	s_cbranch_execz .LBB32_14
; %bb.9:
	v_or_b32_e32 v6, 8, v0
	v_or_b32_e32 v7, 0x200, v8
	s_mov_b32 s1, exec_lo
                                        ; implicit-def: $vgpr2_vgpr3
	s_delay_alu instid0(VALU_DEP_2)
	v_cmpx_le_i32_e64 s3, v6
	s_xor_b32 s1, exec_lo, s1
	s_cbranch_execz .LBB32_11
; %bb.10:
	ds_load_b64 v[2:3], v7
	ds_load_b64 v[4:5], v4
	s_wait_dscnt 0x0
	v_div_scale_f64 v[6:7], null, v[4:5], v[4:5], v[2:3]
	s_delay_alu instid0(VALU_DEP_1) | instskip(SKIP_1) | instid1(TRANS32_DEP_1)
	v_rcp_f64_e32 v[10:11], v[6:7]
	v_nop
	v_fma_f64 v[12:13], -v[6:7], v[10:11], 1.0
	s_delay_alu instid0(VALU_DEP_1) | instskip(NEXT) | instid1(VALU_DEP_1)
	v_fmac_f64_e32 v[10:11], v[10:11], v[12:13]
	v_fma_f64 v[12:13], -v[6:7], v[10:11], 1.0
	s_delay_alu instid0(VALU_DEP_1) | instskip(SKIP_1) | instid1(VALU_DEP_1)
	v_fmac_f64_e32 v[10:11], v[10:11], v[12:13]
	v_div_scale_f64 v[12:13], vcc_lo, v[2:3], v[4:5], v[2:3]
	v_mul_f64_e32 v[14:15], v[12:13], v[10:11]
	s_delay_alu instid0(VALU_DEP_1) | instskip(NEXT) | instid1(VALU_DEP_1)
	v_fma_f64 v[6:7], -v[6:7], v[14:15], v[12:13]
	v_div_fmas_f64 v[6:7], v[6:7], v[10:11], v[14:15]
	s_delay_alu instid0(VALU_DEP_1)
	v_div_fixup_f64 v[2:3], v[6:7], v[4:5], v[2:3]
                                        ; implicit-def: $vgpr4
                                        ; implicit-def: $vgpr5
                                        ; implicit-def: $vgpr7
                                        ; implicit-def: $vgpr6
.LBB32_11:
	s_and_not1_saveexec_b32 s1, s1
	s_cbranch_execz .LBB32_13
; %bb.12:
	ds_load_b64 v[14:15], v5
	ds_load_b64 v[16:17], v8 offset:64
	ds_load_2addr_b64 v[2:5], v4 offset1:8
	v_mov_b32_e32 v0, v6
	s_wait_dscnt 0x1
	v_mul_f64_e32 v[10:11], v[14:15], v[16:17]
	s_wait_dscnt 0x0
	s_delay_alu instid0(VALU_DEP_1) | instskip(NEXT) | instid1(VALU_DEP_1)
	v_fma_f64 v[18:19], v[4:5], v[2:3], -v[10:11]
	v_div_scale_f64 v[10:11], null, v[18:19], v[18:19], 1.0
	v_div_scale_f64 v[22:23], vcc_lo, 1.0, v[18:19], 1.0
	s_delay_alu instid0(VALU_DEP_2) | instskip(SKIP_1) | instid1(TRANS32_DEP_1)
	v_rcp_f64_e32 v[20:21], v[10:11]
	v_nop
	v_fma_f64 v[12:13], -v[10:11], v[20:21], 1.0
	s_delay_alu instid0(VALU_DEP_1) | instskip(NEXT) | instid1(VALU_DEP_1)
	v_fmac_f64_e32 v[20:21], v[20:21], v[12:13]
	v_fma_f64 v[12:13], -v[10:11], v[20:21], 1.0
	s_delay_alu instid0(VALU_DEP_1) | instskip(NEXT) | instid1(VALU_DEP_1)
	v_fmac_f64_e32 v[20:21], v[20:21], v[12:13]
	v_mul_f64_e32 v[24:25], v[22:23], v[20:21]
	s_delay_alu instid0(VALU_DEP_1)
	v_fma_f64 v[22:23], -v[10:11], v[24:25], v[22:23]
	ds_load_2addr_b64 v[10:13], v7 offset1:8
	s_wait_dscnt 0x0
	v_mul_f64_e32 v[14:15], v[14:15], v[12:13]
	v_mul_f64_e32 v[16:17], v[16:17], v[10:11]
	v_div_fmas_f64 v[20:21], v[22:23], v[20:21], v[24:25]
	s_delay_alu instid0(VALU_DEP_3) | instskip(NEXT) | instid1(VALU_DEP_3)
	v_fma_f64 v[4:5], v[4:5], v[10:11], -v[14:15]
	v_fma_f64 v[2:3], v[2:3], v[12:13], -v[16:17]
	s_delay_alu instid0(VALU_DEP_3) | instskip(NEXT) | instid1(VALU_DEP_1)
	v_div_fixup_f64 v[18:19], v[20:21], v[18:19], 1.0
	v_mul_f64_e32 v[4:5], v[18:19], v[4:5]
	s_delay_alu instid0(VALU_DEP_3)
	v_mul_f64_e32 v[2:3], v[18:19], v[2:3]
	ds_store_b64 v8, v[4:5] offset:384
.LBB32_13:
	s_or_b32 exec_lo, exec_lo, s1
	v_lshlrev_b32_e32 v0, 3, v0
	ds_store_b64 v0, v[2:3] offset:384
.LBB32_14:
	s_or_b32 exec_lo, exec_lo, s0
	s_wait_dscnt 0x0
	; wave barrier
	s_and_saveexec_b32 s0, s2
	s_cbranch_execz .LBB32_16
; %bb.15:
	ds_load_b64 v[2:3], v8 offset:384
	s_wait_dscnt 0x0
	s_wait_kmcnt 0x0
	global_store_b64 v1, v[2:3], s[4:5] scale_offset
.LBB32_16:
	s_endpgm
	.section	.rodata,"a",@progbits
	.p2align	6, 0x0
	.amdhsa_kernel _ZN9rocsparseL44gtsv_nopivot_strided_batch_pcr_shared_kernelILj16EdEEviiiPKT0_S3_S3_PS1_
		.amdhsa_group_segment_fixed_size 640
		.amdhsa_private_segment_fixed_size 0
		.amdhsa_kernarg_size 48
		.amdhsa_user_sgpr_count 2
		.amdhsa_user_sgpr_dispatch_ptr 0
		.amdhsa_user_sgpr_queue_ptr 0
		.amdhsa_user_sgpr_kernarg_segment_ptr 1
		.amdhsa_user_sgpr_dispatch_id 0
		.amdhsa_user_sgpr_kernarg_preload_length 0
		.amdhsa_user_sgpr_kernarg_preload_offset 0
		.amdhsa_user_sgpr_private_segment_size 0
		.amdhsa_wavefront_size32 1
		.amdhsa_uses_dynamic_stack 0
		.amdhsa_enable_private_segment 0
		.amdhsa_system_sgpr_workgroup_id_x 1
		.amdhsa_system_sgpr_workgroup_id_y 0
		.amdhsa_system_sgpr_workgroup_id_z 0
		.amdhsa_system_sgpr_workgroup_info 0
		.amdhsa_system_vgpr_workitem_id 0
		.amdhsa_next_free_vgpr 39
		.amdhsa_next_free_sgpr 8
		.amdhsa_named_barrier_count 0
		.amdhsa_reserve_vcc 1
		.amdhsa_float_round_mode_32 0
		.amdhsa_float_round_mode_16_64 0
		.amdhsa_float_denorm_mode_32 3
		.amdhsa_float_denorm_mode_16_64 3
		.amdhsa_fp16_overflow 0
		.amdhsa_memory_ordered 1
		.amdhsa_forward_progress 1
		.amdhsa_inst_pref_size 15
		.amdhsa_round_robin_scheduling 0
		.amdhsa_exception_fp_ieee_invalid_op 0
		.amdhsa_exception_fp_denorm_src 0
		.amdhsa_exception_fp_ieee_div_zero 0
		.amdhsa_exception_fp_ieee_overflow 0
		.amdhsa_exception_fp_ieee_underflow 0
		.amdhsa_exception_fp_ieee_inexact 0
		.amdhsa_exception_int_div_zero 0
	.end_amdhsa_kernel
	.section	.text._ZN9rocsparseL44gtsv_nopivot_strided_batch_pcr_shared_kernelILj16EdEEviiiPKT0_S3_S3_PS1_,"axG",@progbits,_ZN9rocsparseL44gtsv_nopivot_strided_batch_pcr_shared_kernelILj16EdEEviiiPKT0_S3_S3_PS1_,comdat
.Lfunc_end32:
	.size	_ZN9rocsparseL44gtsv_nopivot_strided_batch_pcr_shared_kernelILj16EdEEviiiPKT0_S3_S3_PS1_, .Lfunc_end32-_ZN9rocsparseL44gtsv_nopivot_strided_batch_pcr_shared_kernelILj16EdEEviiiPKT0_S3_S3_PS1_
                                        ; -- End function
	.set _ZN9rocsparseL44gtsv_nopivot_strided_batch_pcr_shared_kernelILj16EdEEviiiPKT0_S3_S3_PS1_.num_vgpr, 39
	.set _ZN9rocsparseL44gtsv_nopivot_strided_batch_pcr_shared_kernelILj16EdEEviiiPKT0_S3_S3_PS1_.num_agpr, 0
	.set _ZN9rocsparseL44gtsv_nopivot_strided_batch_pcr_shared_kernelILj16EdEEviiiPKT0_S3_S3_PS1_.numbered_sgpr, 8
	.set _ZN9rocsparseL44gtsv_nopivot_strided_batch_pcr_shared_kernelILj16EdEEviiiPKT0_S3_S3_PS1_.num_named_barrier, 0
	.set _ZN9rocsparseL44gtsv_nopivot_strided_batch_pcr_shared_kernelILj16EdEEviiiPKT0_S3_S3_PS1_.private_seg_size, 0
	.set _ZN9rocsparseL44gtsv_nopivot_strided_batch_pcr_shared_kernelILj16EdEEviiiPKT0_S3_S3_PS1_.uses_vcc, 1
	.set _ZN9rocsparseL44gtsv_nopivot_strided_batch_pcr_shared_kernelILj16EdEEviiiPKT0_S3_S3_PS1_.uses_flat_scratch, 0
	.set _ZN9rocsparseL44gtsv_nopivot_strided_batch_pcr_shared_kernelILj16EdEEviiiPKT0_S3_S3_PS1_.has_dyn_sized_stack, 0
	.set _ZN9rocsparseL44gtsv_nopivot_strided_batch_pcr_shared_kernelILj16EdEEviiiPKT0_S3_S3_PS1_.has_recursion, 0
	.set _ZN9rocsparseL44gtsv_nopivot_strided_batch_pcr_shared_kernelILj16EdEEviiiPKT0_S3_S3_PS1_.has_indirect_call, 0
	.section	.AMDGPU.csdata,"",@progbits
; Kernel info:
; codeLenInByte = 1892
; TotalNumSgprs: 10
; NumVgprs: 39
; ScratchSize: 0
; MemoryBound: 0
; FloatMode: 240
; IeeeMode: 1
; LDSByteSize: 640 bytes/workgroup (compile time only)
; SGPRBlocks: 0
; VGPRBlocks: 2
; NumSGPRsForWavesPerEU: 10
; NumVGPRsForWavesPerEU: 39
; NamedBarCnt: 0
; Occupancy: 16
; WaveLimiterHint : 0
; COMPUTE_PGM_RSRC2:SCRATCH_EN: 0
; COMPUTE_PGM_RSRC2:USER_SGPR: 2
; COMPUTE_PGM_RSRC2:TRAP_HANDLER: 0
; COMPUTE_PGM_RSRC2:TGID_X_EN: 1
; COMPUTE_PGM_RSRC2:TGID_Y_EN: 0
; COMPUTE_PGM_RSRC2:TGID_Z_EN: 0
; COMPUTE_PGM_RSRC2:TIDIG_COMP_CNT: 0
	.section	.text._ZN9rocsparseL44gtsv_nopivot_strided_batch_pcr_shared_kernelILj32EdEEviiiPKT0_S3_S3_PS1_,"axG",@progbits,_ZN9rocsparseL44gtsv_nopivot_strided_batch_pcr_shared_kernelILj32EdEEviiiPKT0_S3_S3_PS1_,comdat
	.globl	_ZN9rocsparseL44gtsv_nopivot_strided_batch_pcr_shared_kernelILj32EdEEviiiPKT0_S3_S3_PS1_ ; -- Begin function _ZN9rocsparseL44gtsv_nopivot_strided_batch_pcr_shared_kernelILj32EdEEviiiPKT0_S3_S3_PS1_
	.p2align	8
	.type	_ZN9rocsparseL44gtsv_nopivot_strided_batch_pcr_shared_kernelILj32EdEEviiiPKT0_S3_S3_PS1_,@function
_ZN9rocsparseL44gtsv_nopivot_strided_batch_pcr_shared_kernelILj32EdEEviiiPKT0_S3_S3_PS1_: ; @_ZN9rocsparseL44gtsv_nopivot_strided_batch_pcr_shared_kernelILj32EdEEviiiPKT0_S3_S3_PS1_
; %bb.0:
	s_clause 0x1
	s_load_b32 s2, s[0:1], 0x8
	s_load_b32 s3, s[0:1], 0x0
	s_bfe_u32 s4, ttmp6, 0x4000c
	s_and_b32 s5, ttmp6, 15
	s_add_co_i32 s4, s4, 1
	s_getreg_b32 s6, hwreg(HW_REG_IB_STS2, 6, 4)
	s_mul_i32 s4, ttmp9, s4
	v_mov_b64_e32 v[4:5], 0
	s_add_co_i32 s5, s5, s4
	s_cmp_eq_u32 s6, 0
	v_mov_b64_e32 v[2:3], 0
	s_cselect_b32 s4, ttmp9, s5
	s_wait_kmcnt 0x0
	v_mad_u32 v1, s2, s4, v0
	v_cmp_gt_i32_e64 s2, s3, v0
	s_and_saveexec_b32 s4, s2
	s_cbranch_execz .LBB33_2
; %bb.1:
	s_load_b64 s[6:7], s[0:1], 0x10
	s_wait_kmcnt 0x0
	global_load_b64 v[2:3], v1, s[6:7] scale_offset
.LBB33_2:
	s_wait_xcnt 0x0
	s_or_b32 exec_lo, exec_lo, s4
	v_lshlrev_b32_e32 v8, 3, v0
	s_wait_loadcnt 0x0
	ds_store_b64 v8, v[2:3]
	s_and_saveexec_b32 s4, s2
	s_cbranch_execz .LBB33_4
; %bb.3:
	s_load_b64 s[6:7], s[0:1], 0x18
	s_wait_kmcnt 0x0
	global_load_b64 v[4:5], v1, s[6:7] scale_offset
.LBB33_4:
	s_wait_xcnt 0x0
	s_or_b32 exec_lo, exec_lo, s4
	s_load_b64 s[4:5], s[0:1], 0x28
	v_mov_b64_e32 v[2:3], 0
	v_mov_b64_e32 v[6:7], 0
	s_wait_loadcnt 0x0
	ds_store_b64 v8, v[4:5] offset:256
	s_and_saveexec_b32 s6, s2
	s_cbranch_execz .LBB33_6
; %bb.5:
	s_wait_xcnt 0x0
	s_load_b64 s[0:1], s[0:1], 0x20
	s_wait_kmcnt 0x0
	global_load_b64 v[6:7], v1, s[0:1] scale_offset
.LBB33_6:
	s_wait_xcnt 0x0
	s_or_b32 exec_lo, exec_lo, s6
	v_or_b32_e32 v4, 0x100, v8
	v_or_b32_e32 v5, 0x200, v8
	s_wait_loadcnt 0x0
	ds_store_b64 v8, v[6:7] offset:512
	s_and_saveexec_b32 s0, s2
	s_cbranch_execz .LBB33_8
; %bb.7:
	s_wait_kmcnt 0x0
	global_load_b64 v[2:3], v1, s[4:5] scale_offset
.LBB33_8:
	s_wait_xcnt 0x0
	s_or_b32 exec_lo, exec_lo, s0
	v_sub_nc_u32_e64 v6, v0, 1 clamp
	s_wait_loadcnt 0x0
	ds_store_b64 v8, v[2:3] offset:1024
	s_wait_dscnt 0x0
	; wave barrier
	s_add_co_i32 s1, s3, -1
	v_lshlrev_b32_e32 v9, 3, v6
	v_add_min_i32_e64 v14, v0, 1, s1
	ds_load_b64 v[2:3], v8
	ds_load_2addr_b64 v[10:13], v9 offset1:32
	ds_load_b64 v[6:7], v8 offset:1024
	s_wait_dscnt 0x1
	v_div_scale_f64 v[18:19], null, v[12:13], v[12:13], v[2:3]
	v_div_scale_f64 v[34:35], vcc_lo, v[2:3], v[12:13], v[2:3]
	v_lshlrev_b32_e32 v38, 3, v14
	ds_load_2addr_b64 v[14:17], v38 offset1:32
	ds_load_b64 v[22:23], v5
	ds_load_b64 v[24:25], v4
	s_wait_dscnt 0x1
	v_div_scale_f64 v[20:21], null, v[16:17], v[16:17], v[22:23]
	v_rcp_f64_e32 v[26:27], v[18:19]
	s_delay_alu instid0(VALU_DEP_1) | instskip(NEXT) | instid1(TRANS32_DEP_2)
	v_rcp_f64_e32 v[28:29], v[20:21]
	v_fma_f64 v[30:31], -v[18:19], v[26:27], 1.0
	s_delay_alu instid0(TRANS32_DEP_1) | instskip(NEXT) | instid1(VALU_DEP_2)
	v_fma_f64 v[32:33], -v[20:21], v[28:29], 1.0
	v_fmac_f64_e32 v[26:27], v[26:27], v[30:31]
	s_delay_alu instid0(VALU_DEP_2) | instskip(NEXT) | instid1(VALU_DEP_2)
	v_fmac_f64_e32 v[28:29], v[28:29], v[32:33]
	v_fma_f64 v[30:31], -v[18:19], v[26:27], 1.0
	s_delay_alu instid0(VALU_DEP_2) | instskip(NEXT) | instid1(VALU_DEP_2)
	v_fma_f64 v[32:33], -v[20:21], v[28:29], 1.0
	v_fmac_f64_e32 v[26:27], v[26:27], v[30:31]
	v_div_scale_f64 v[30:31], s0, v[22:23], v[16:17], v[22:23]
	s_delay_alu instid0(VALU_DEP_3) | instskip(NEXT) | instid1(VALU_DEP_3)
	v_fmac_f64_e32 v[28:29], v[28:29], v[32:33]
	v_mul_f64_e32 v[32:33], v[34:35], v[26:27]
	s_delay_alu instid0(VALU_DEP_2) | instskip(NEXT) | instid1(VALU_DEP_2)
	v_mul_f64_e32 v[36:37], v[30:31], v[28:29]
	v_fma_f64 v[18:19], -v[18:19], v[32:33], v[34:35]
	s_delay_alu instid0(VALU_DEP_2) | instskip(NEXT) | instid1(VALU_DEP_2)
	v_fma_f64 v[20:21], -v[20:21], v[36:37], v[30:31]
	v_div_fmas_f64 v[18:19], v[18:19], v[26:27], v[32:33]
	s_mov_b32 vcc_lo, s0
	s_delay_alu instid0(VALU_DEP_2) | instskip(NEXT) | instid1(VALU_DEP_2)
	v_div_fmas_f64 v[26:27], v[20:21], v[28:29], v[36:37]
	v_div_fixup_f64 v[2:3], v[18:19], v[12:13], v[2:3]
	ds_load_2addr_stride64_b64 v[18:21], v9 offset0:1 offset1:2
	v_sub_nc_u32_e64 v9, v0, 2 clamp
	s_delay_alu instid0(VALU_DEP_1)
	v_lshlrev_b32_e32 v9, 3, v9
	v_div_fixup_f64 v[12:13], v[26:27], v[16:17], v[22:23]
	s_wait_dscnt 0x0
	v_fma_f64 v[22:23], -v[2:3], v[18:19], v[24:25]
	v_fma_f64 v[6:7], -v[2:3], v[20:21], v[6:7]
	ds_load_2addr_stride64_b64 v[16:19], v38 offset0:1 offset1:2
	v_mul_f64_e64 v[2:3], v[2:3], -v[10:11]
	s_wait_dscnt 0x0
	; wave barrier
	v_mul_f64_e64 v[10:11], v[12:13], -v[16:17]
	v_fma_f64 v[14:15], -v[12:13], v[14:15], v[22:23]
	v_fma_f64 v[6:7], -v[12:13], v[18:19], v[6:7]
	ds_store_b64 v4, v[14:15]
	ds_store_b64 v8, v[6:7] offset:1024
	ds_store_b64 v8, v[2:3]
	ds_store_b64 v5, v[10:11]
	s_wait_dscnt 0x0
	; wave barrier
	ds_load_b64 v[2:3], v8
	ds_load_2addr_b64 v[10:13], v9 offset1:32
	v_add_min_i32_e64 v14, v0, 2, s1
	ds_load_b64 v[6:7], v8 offset:1024
	v_lshlrev_b32_e32 v38, 3, v14
	ds_load_2addr_b64 v[14:17], v38 offset1:32
	ds_load_b64 v[22:23], v5
	ds_load_b64 v[24:25], v4
	s_wait_dscnt 0x4
	v_div_scale_f64 v[18:19], null, v[12:13], v[12:13], v[2:3]
	v_div_scale_f64 v[34:35], vcc_lo, v[2:3], v[12:13], v[2:3]
	s_wait_dscnt 0x1
	v_div_scale_f64 v[20:21], null, v[16:17], v[16:17], v[22:23]
	s_delay_alu instid0(VALU_DEP_3) | instskip(NEXT) | instid1(VALU_DEP_1)
	v_rcp_f64_e32 v[26:27], v[18:19]
	v_rcp_f64_e32 v[28:29], v[20:21]
	s_delay_alu instid0(TRANS32_DEP_2) | instskip(NEXT) | instid1(TRANS32_DEP_1)
	v_fma_f64 v[30:31], -v[18:19], v[26:27], 1.0
	v_fma_f64 v[32:33], -v[20:21], v[28:29], 1.0
	s_delay_alu instid0(VALU_DEP_2) | instskip(NEXT) | instid1(VALU_DEP_2)
	v_fmac_f64_e32 v[26:27], v[26:27], v[30:31]
	v_fmac_f64_e32 v[28:29], v[28:29], v[32:33]
	s_delay_alu instid0(VALU_DEP_2) | instskip(NEXT) | instid1(VALU_DEP_2)
	v_fma_f64 v[30:31], -v[18:19], v[26:27], 1.0
	v_fma_f64 v[32:33], -v[20:21], v[28:29], 1.0
	s_delay_alu instid0(VALU_DEP_2) | instskip(SKIP_1) | instid1(VALU_DEP_3)
	v_fmac_f64_e32 v[26:27], v[26:27], v[30:31]
	v_div_scale_f64 v[30:31], s0, v[22:23], v[16:17], v[22:23]
	v_fmac_f64_e32 v[28:29], v[28:29], v[32:33]
	s_delay_alu instid0(VALU_DEP_3) | instskip(NEXT) | instid1(VALU_DEP_2)
	v_mul_f64_e32 v[32:33], v[34:35], v[26:27]
	v_mul_f64_e32 v[36:37], v[30:31], v[28:29]
	s_delay_alu instid0(VALU_DEP_2) | instskip(NEXT) | instid1(VALU_DEP_2)
	v_fma_f64 v[18:19], -v[18:19], v[32:33], v[34:35]
	v_fma_f64 v[20:21], -v[20:21], v[36:37], v[30:31]
	s_delay_alu instid0(VALU_DEP_2) | instskip(SKIP_1) | instid1(VALU_DEP_2)
	v_div_fmas_f64 v[18:19], v[18:19], v[26:27], v[32:33]
	s_mov_b32 vcc_lo, s0
	v_div_fmas_f64 v[26:27], v[20:21], v[28:29], v[36:37]
	s_delay_alu instid0(VALU_DEP_2) | instskip(SKIP_2) | instid1(VALU_DEP_1)
	v_div_fixup_f64 v[2:3], v[18:19], v[12:13], v[2:3]
	ds_load_2addr_stride64_b64 v[18:21], v9 offset0:1 offset1:2
	v_sub_nc_u32_e64 v9, v0, 4 clamp
	v_lshlrev_b32_e32 v9, 3, v9
	v_div_fixup_f64 v[12:13], v[26:27], v[16:17], v[22:23]
	s_wait_dscnt 0x0
	v_fma_f64 v[22:23], -v[2:3], v[18:19], v[24:25]
	v_fma_f64 v[6:7], -v[2:3], v[20:21], v[6:7]
	ds_load_2addr_stride64_b64 v[16:19], v38 offset0:1 offset1:2
	v_mul_f64_e64 v[2:3], v[2:3], -v[10:11]
	s_wait_dscnt 0x0
	; wave barrier
	v_mul_f64_e64 v[10:11], v[12:13], -v[16:17]
	v_fma_f64 v[14:15], -v[12:13], v[14:15], v[22:23]
	v_fma_f64 v[6:7], -v[12:13], v[18:19], v[6:7]
	ds_store_b64 v4, v[14:15]
	ds_store_b64 v8, v[6:7] offset:1024
	ds_store_b64 v8, v[2:3]
	ds_store_b64 v5, v[10:11]
	s_wait_dscnt 0x0
	; wave barrier
	ds_load_b64 v[2:3], v8
	ds_load_2addr_b64 v[10:13], v9 offset1:32
	v_add_min_i32_e64 v14, v0, 4, s1
	ds_load_b64 v[6:7], v8 offset:1024
	v_lshlrev_b32_e32 v38, 3, v14
	ds_load_2addr_b64 v[14:17], v38 offset1:32
	ds_load_b64 v[22:23], v5
	ds_load_b64 v[24:25], v4
	s_wait_dscnt 0x4
	v_div_scale_f64 v[18:19], null, v[12:13], v[12:13], v[2:3]
	v_div_scale_f64 v[34:35], vcc_lo, v[2:3], v[12:13], v[2:3]
	s_wait_dscnt 0x1
	v_div_scale_f64 v[20:21], null, v[16:17], v[16:17], v[22:23]
	s_delay_alu instid0(VALU_DEP_3) | instskip(NEXT) | instid1(VALU_DEP_1)
	v_rcp_f64_e32 v[26:27], v[18:19]
	v_rcp_f64_e32 v[28:29], v[20:21]
	s_delay_alu instid0(TRANS32_DEP_2) | instskip(NEXT) | instid1(TRANS32_DEP_1)
	v_fma_f64 v[30:31], -v[18:19], v[26:27], 1.0
	v_fma_f64 v[32:33], -v[20:21], v[28:29], 1.0
	s_delay_alu instid0(VALU_DEP_2) | instskip(NEXT) | instid1(VALU_DEP_2)
	v_fmac_f64_e32 v[26:27], v[26:27], v[30:31]
	v_fmac_f64_e32 v[28:29], v[28:29], v[32:33]
	s_delay_alu instid0(VALU_DEP_2) | instskip(NEXT) | instid1(VALU_DEP_2)
	v_fma_f64 v[30:31], -v[18:19], v[26:27], 1.0
	v_fma_f64 v[32:33], -v[20:21], v[28:29], 1.0
	s_delay_alu instid0(VALU_DEP_2) | instskip(SKIP_1) | instid1(VALU_DEP_3)
	v_fmac_f64_e32 v[26:27], v[26:27], v[30:31]
	v_div_scale_f64 v[30:31], s0, v[22:23], v[16:17], v[22:23]
	v_fmac_f64_e32 v[28:29], v[28:29], v[32:33]
	s_delay_alu instid0(VALU_DEP_3) | instskip(NEXT) | instid1(VALU_DEP_2)
	v_mul_f64_e32 v[32:33], v[34:35], v[26:27]
	v_mul_f64_e32 v[36:37], v[30:31], v[28:29]
	s_delay_alu instid0(VALU_DEP_2) | instskip(NEXT) | instid1(VALU_DEP_2)
	v_fma_f64 v[18:19], -v[18:19], v[32:33], v[34:35]
	v_fma_f64 v[20:21], -v[20:21], v[36:37], v[30:31]
	s_delay_alu instid0(VALU_DEP_2) | instskip(SKIP_1) | instid1(VALU_DEP_2)
	v_div_fmas_f64 v[18:19], v[18:19], v[26:27], v[32:33]
	s_mov_b32 vcc_lo, s0
	v_div_fmas_f64 v[26:27], v[20:21], v[28:29], v[36:37]
	s_delay_alu instid0(VALU_DEP_2) | instskip(SKIP_2) | instid1(VALU_DEP_1)
	v_div_fixup_f64 v[2:3], v[18:19], v[12:13], v[2:3]
	ds_load_2addr_stride64_b64 v[18:21], v9 offset0:1 offset1:2
	v_sub_nc_u32_e64 v9, v0, 8 clamp
	v_lshlrev_b32_e32 v9, 3, v9
	v_div_fixup_f64 v[12:13], v[26:27], v[16:17], v[22:23]
	s_wait_dscnt 0x0
	v_fma_f64 v[22:23], -v[2:3], v[18:19], v[24:25]
	v_fma_f64 v[6:7], -v[2:3], v[20:21], v[6:7]
	ds_load_2addr_stride64_b64 v[16:19], v38 offset0:1 offset1:2
	v_mul_f64_e64 v[2:3], v[2:3], -v[10:11]
	s_wait_dscnt 0x0
	; wave barrier
	v_mul_f64_e64 v[10:11], v[12:13], -v[16:17]
	v_fma_f64 v[14:15], -v[12:13], v[14:15], v[22:23]
	v_fma_f64 v[6:7], -v[12:13], v[18:19], v[6:7]
	ds_store_b64 v4, v[14:15]
	ds_store_b64 v8, v[6:7] offset:1024
	ds_store_b64 v8, v[2:3]
	ds_store_b64 v5, v[10:11]
	s_wait_dscnt 0x0
	; wave barrier
	ds_load_b64 v[2:3], v8
	ds_load_2addr_b64 v[10:13], v9 offset1:32
	v_add_min_i32_e64 v14, v0, 8, s1
	ds_load_b64 v[6:7], v8 offset:1024
	v_lshlrev_b32_e32 v38, 3, v14
	ds_load_2addr_b64 v[14:17], v38 offset1:32
	ds_load_b64 v[22:23], v5
	ds_load_b64 v[24:25], v4
	s_wait_dscnt 0x4
	v_div_scale_f64 v[18:19], null, v[12:13], v[12:13], v[2:3]
	v_div_scale_f64 v[34:35], vcc_lo, v[2:3], v[12:13], v[2:3]
	s_wait_dscnt 0x1
	v_div_scale_f64 v[20:21], null, v[16:17], v[16:17], v[22:23]
	s_delay_alu instid0(VALU_DEP_3) | instskip(NEXT) | instid1(VALU_DEP_1)
	v_rcp_f64_e32 v[26:27], v[18:19]
	v_rcp_f64_e32 v[28:29], v[20:21]
	s_delay_alu instid0(TRANS32_DEP_2) | instskip(NEXT) | instid1(TRANS32_DEP_1)
	v_fma_f64 v[30:31], -v[18:19], v[26:27], 1.0
	v_fma_f64 v[32:33], -v[20:21], v[28:29], 1.0
	s_delay_alu instid0(VALU_DEP_2) | instskip(NEXT) | instid1(VALU_DEP_2)
	v_fmac_f64_e32 v[26:27], v[26:27], v[30:31]
	v_fmac_f64_e32 v[28:29], v[28:29], v[32:33]
	s_delay_alu instid0(VALU_DEP_2) | instskip(NEXT) | instid1(VALU_DEP_2)
	v_fma_f64 v[30:31], -v[18:19], v[26:27], 1.0
	v_fma_f64 v[32:33], -v[20:21], v[28:29], 1.0
	s_delay_alu instid0(VALU_DEP_2) | instskip(SKIP_1) | instid1(VALU_DEP_3)
	v_fmac_f64_e32 v[26:27], v[26:27], v[30:31]
	v_div_scale_f64 v[30:31], s0, v[22:23], v[16:17], v[22:23]
	v_fmac_f64_e32 v[28:29], v[28:29], v[32:33]
	s_delay_alu instid0(VALU_DEP_3) | instskip(NEXT) | instid1(VALU_DEP_2)
	v_mul_f64_e32 v[32:33], v[34:35], v[26:27]
	v_mul_f64_e32 v[36:37], v[30:31], v[28:29]
	s_delay_alu instid0(VALU_DEP_2) | instskip(NEXT) | instid1(VALU_DEP_2)
	v_fma_f64 v[18:19], -v[18:19], v[32:33], v[34:35]
	v_fma_f64 v[20:21], -v[20:21], v[36:37], v[30:31]
	s_delay_alu instid0(VALU_DEP_2) | instskip(SKIP_2) | instid1(VALU_DEP_2)
	v_div_fmas_f64 v[18:19], v[18:19], v[26:27], v[32:33]
	s_mov_b32 vcc_lo, s0
	s_mov_b32 s0, exec_lo
	v_div_fmas_f64 v[26:27], v[20:21], v[28:29], v[36:37]
	s_delay_alu instid0(VALU_DEP_2)
	v_div_fixup_f64 v[2:3], v[18:19], v[12:13], v[2:3]
	ds_load_2addr_stride64_b64 v[18:21], v9 offset0:1 offset1:2
	v_div_fixup_f64 v[12:13], v[26:27], v[16:17], v[22:23]
	s_wait_dscnt 0x0
	v_fma_f64 v[22:23], -v[2:3], v[18:19], v[24:25]
	v_fma_f64 v[6:7], -v[2:3], v[20:21], v[6:7]
	ds_load_2addr_stride64_b64 v[16:19], v38 offset0:1 offset1:2
	v_mul_f64_e64 v[2:3], v[2:3], -v[10:11]
	s_wait_dscnt 0x0
	; wave barrier
	v_mul_f64_e64 v[10:11], v[12:13], -v[16:17]
	v_fma_f64 v[14:15], -v[12:13], v[14:15], v[22:23]
	v_fma_f64 v[6:7], -v[12:13], v[18:19], v[6:7]
	ds_store_b64 v4, v[14:15]
	ds_store_b64 v8, v[6:7] offset:1024
	ds_store_b64 v8, v[2:3]
	ds_store_b64 v5, v[10:11]
	s_wait_dscnt 0x0
	; wave barrier
	v_cmpx_gt_u32_e32 16, v0
	s_cbranch_execz .LBB33_14
; %bb.9:
	v_or_b32_e32 v6, 16, v0
	v_or_b32_e32 v7, 0x400, v8
	s_mov_b32 s1, exec_lo
                                        ; implicit-def: $vgpr2_vgpr3
	s_delay_alu instid0(VALU_DEP_2)
	v_cmpx_le_i32_e64 s3, v6
	s_xor_b32 s1, exec_lo, s1
	s_cbranch_execz .LBB33_11
; %bb.10:
	ds_load_b64 v[2:3], v7
	ds_load_b64 v[4:5], v4
	s_wait_dscnt 0x0
	v_div_scale_f64 v[6:7], null, v[4:5], v[4:5], v[2:3]
	s_delay_alu instid0(VALU_DEP_1) | instskip(SKIP_1) | instid1(TRANS32_DEP_1)
	v_rcp_f64_e32 v[10:11], v[6:7]
	v_nop
	v_fma_f64 v[12:13], -v[6:7], v[10:11], 1.0
	s_delay_alu instid0(VALU_DEP_1) | instskip(NEXT) | instid1(VALU_DEP_1)
	v_fmac_f64_e32 v[10:11], v[10:11], v[12:13]
	v_fma_f64 v[12:13], -v[6:7], v[10:11], 1.0
	s_delay_alu instid0(VALU_DEP_1) | instskip(SKIP_1) | instid1(VALU_DEP_1)
	v_fmac_f64_e32 v[10:11], v[10:11], v[12:13]
	v_div_scale_f64 v[12:13], vcc_lo, v[2:3], v[4:5], v[2:3]
	v_mul_f64_e32 v[14:15], v[12:13], v[10:11]
	s_delay_alu instid0(VALU_DEP_1) | instskip(NEXT) | instid1(VALU_DEP_1)
	v_fma_f64 v[6:7], -v[6:7], v[14:15], v[12:13]
	v_div_fmas_f64 v[6:7], v[6:7], v[10:11], v[14:15]
	s_delay_alu instid0(VALU_DEP_1)
	v_div_fixup_f64 v[2:3], v[6:7], v[4:5], v[2:3]
                                        ; implicit-def: $vgpr4
                                        ; implicit-def: $vgpr5
                                        ; implicit-def: $vgpr7
                                        ; implicit-def: $vgpr6
.LBB33_11:
	s_and_not1_saveexec_b32 s1, s1
	s_cbranch_execz .LBB33_13
; %bb.12:
	ds_load_b64 v[14:15], v5
	ds_load_b64 v[16:17], v8 offset:128
	ds_load_2addr_b64 v[2:5], v4 offset1:16
	v_mov_b32_e32 v0, v6
	s_wait_dscnt 0x1
	v_mul_f64_e32 v[10:11], v[14:15], v[16:17]
	s_wait_dscnt 0x0
	s_delay_alu instid0(VALU_DEP_1) | instskip(NEXT) | instid1(VALU_DEP_1)
	v_fma_f64 v[18:19], v[4:5], v[2:3], -v[10:11]
	v_div_scale_f64 v[10:11], null, v[18:19], v[18:19], 1.0
	v_div_scale_f64 v[22:23], vcc_lo, 1.0, v[18:19], 1.0
	s_delay_alu instid0(VALU_DEP_2) | instskip(SKIP_1) | instid1(TRANS32_DEP_1)
	v_rcp_f64_e32 v[20:21], v[10:11]
	v_nop
	v_fma_f64 v[12:13], -v[10:11], v[20:21], 1.0
	s_delay_alu instid0(VALU_DEP_1) | instskip(NEXT) | instid1(VALU_DEP_1)
	v_fmac_f64_e32 v[20:21], v[20:21], v[12:13]
	v_fma_f64 v[12:13], -v[10:11], v[20:21], 1.0
	s_delay_alu instid0(VALU_DEP_1) | instskip(NEXT) | instid1(VALU_DEP_1)
	v_fmac_f64_e32 v[20:21], v[20:21], v[12:13]
	v_mul_f64_e32 v[24:25], v[22:23], v[20:21]
	s_delay_alu instid0(VALU_DEP_1)
	v_fma_f64 v[22:23], -v[10:11], v[24:25], v[22:23]
	ds_load_2addr_b64 v[10:13], v7 offset1:16
	s_wait_dscnt 0x0
	v_mul_f64_e32 v[14:15], v[14:15], v[12:13]
	v_mul_f64_e32 v[16:17], v[16:17], v[10:11]
	v_div_fmas_f64 v[20:21], v[22:23], v[20:21], v[24:25]
	s_delay_alu instid0(VALU_DEP_3) | instskip(NEXT) | instid1(VALU_DEP_3)
	v_fma_f64 v[4:5], v[4:5], v[10:11], -v[14:15]
	v_fma_f64 v[2:3], v[2:3], v[12:13], -v[16:17]
	s_delay_alu instid0(VALU_DEP_3) | instskip(NEXT) | instid1(VALU_DEP_1)
	v_div_fixup_f64 v[18:19], v[20:21], v[18:19], 1.0
	v_mul_f64_e32 v[4:5], v[18:19], v[4:5]
	s_delay_alu instid0(VALU_DEP_3)
	v_mul_f64_e32 v[2:3], v[18:19], v[2:3]
	ds_store_b64 v8, v[4:5] offset:768
.LBB33_13:
	s_or_b32 exec_lo, exec_lo, s1
	v_lshlrev_b32_e32 v0, 3, v0
	ds_store_b64 v0, v[2:3] offset:768
.LBB33_14:
	s_or_b32 exec_lo, exec_lo, s0
	s_wait_dscnt 0x0
	; wave barrier
	s_and_saveexec_b32 s0, s2
	s_cbranch_execz .LBB33_16
; %bb.15:
	ds_load_b64 v[2:3], v8 offset:768
	s_wait_dscnt 0x0
	s_wait_kmcnt 0x0
	global_store_b64 v1, v[2:3], s[4:5] scale_offset
.LBB33_16:
	s_endpgm
	.section	.rodata,"a",@progbits
	.p2align	6, 0x0
	.amdhsa_kernel _ZN9rocsparseL44gtsv_nopivot_strided_batch_pcr_shared_kernelILj32EdEEviiiPKT0_S3_S3_PS1_
		.amdhsa_group_segment_fixed_size 1280
		.amdhsa_private_segment_fixed_size 0
		.amdhsa_kernarg_size 48
		.amdhsa_user_sgpr_count 2
		.amdhsa_user_sgpr_dispatch_ptr 0
		.amdhsa_user_sgpr_queue_ptr 0
		.amdhsa_user_sgpr_kernarg_segment_ptr 1
		.amdhsa_user_sgpr_dispatch_id 0
		.amdhsa_user_sgpr_kernarg_preload_length 0
		.amdhsa_user_sgpr_kernarg_preload_offset 0
		.amdhsa_user_sgpr_private_segment_size 0
		.amdhsa_wavefront_size32 1
		.amdhsa_uses_dynamic_stack 0
		.amdhsa_enable_private_segment 0
		.amdhsa_system_sgpr_workgroup_id_x 1
		.amdhsa_system_sgpr_workgroup_id_y 0
		.amdhsa_system_sgpr_workgroup_id_z 0
		.amdhsa_system_sgpr_workgroup_info 0
		.amdhsa_system_vgpr_workitem_id 0
		.amdhsa_next_free_vgpr 39
		.amdhsa_next_free_sgpr 8
		.amdhsa_named_barrier_count 0
		.amdhsa_reserve_vcc 1
		.amdhsa_float_round_mode_32 0
		.amdhsa_float_round_mode_16_64 0
		.amdhsa_float_denorm_mode_32 3
		.amdhsa_float_denorm_mode_16_64 3
		.amdhsa_fp16_overflow 0
		.amdhsa_memory_ordered 1
		.amdhsa_forward_progress 1
		.amdhsa_inst_pref_size 18
		.amdhsa_round_robin_scheduling 0
		.amdhsa_exception_fp_ieee_invalid_op 0
		.amdhsa_exception_fp_denorm_src 0
		.amdhsa_exception_fp_ieee_div_zero 0
		.amdhsa_exception_fp_ieee_overflow 0
		.amdhsa_exception_fp_ieee_underflow 0
		.amdhsa_exception_fp_ieee_inexact 0
		.amdhsa_exception_int_div_zero 0
	.end_amdhsa_kernel
	.section	.text._ZN9rocsparseL44gtsv_nopivot_strided_batch_pcr_shared_kernelILj32EdEEviiiPKT0_S3_S3_PS1_,"axG",@progbits,_ZN9rocsparseL44gtsv_nopivot_strided_batch_pcr_shared_kernelILj32EdEEviiiPKT0_S3_S3_PS1_,comdat
.Lfunc_end33:
	.size	_ZN9rocsparseL44gtsv_nopivot_strided_batch_pcr_shared_kernelILj32EdEEviiiPKT0_S3_S3_PS1_, .Lfunc_end33-_ZN9rocsparseL44gtsv_nopivot_strided_batch_pcr_shared_kernelILj32EdEEviiiPKT0_S3_S3_PS1_
                                        ; -- End function
	.set _ZN9rocsparseL44gtsv_nopivot_strided_batch_pcr_shared_kernelILj32EdEEviiiPKT0_S3_S3_PS1_.num_vgpr, 39
	.set _ZN9rocsparseL44gtsv_nopivot_strided_batch_pcr_shared_kernelILj32EdEEviiiPKT0_S3_S3_PS1_.num_agpr, 0
	.set _ZN9rocsparseL44gtsv_nopivot_strided_batch_pcr_shared_kernelILj32EdEEviiiPKT0_S3_S3_PS1_.numbered_sgpr, 8
	.set _ZN9rocsparseL44gtsv_nopivot_strided_batch_pcr_shared_kernelILj32EdEEviiiPKT0_S3_S3_PS1_.num_named_barrier, 0
	.set _ZN9rocsparseL44gtsv_nopivot_strided_batch_pcr_shared_kernelILj32EdEEviiiPKT0_S3_S3_PS1_.private_seg_size, 0
	.set _ZN9rocsparseL44gtsv_nopivot_strided_batch_pcr_shared_kernelILj32EdEEviiiPKT0_S3_S3_PS1_.uses_vcc, 1
	.set _ZN9rocsparseL44gtsv_nopivot_strided_batch_pcr_shared_kernelILj32EdEEviiiPKT0_S3_S3_PS1_.uses_flat_scratch, 0
	.set _ZN9rocsparseL44gtsv_nopivot_strided_batch_pcr_shared_kernelILj32EdEEviiiPKT0_S3_S3_PS1_.has_dyn_sized_stack, 0
	.set _ZN9rocsparseL44gtsv_nopivot_strided_batch_pcr_shared_kernelILj32EdEEviiiPKT0_S3_S3_PS1_.has_recursion, 0
	.set _ZN9rocsparseL44gtsv_nopivot_strided_batch_pcr_shared_kernelILj32EdEEviiiPKT0_S3_S3_PS1_.has_indirect_call, 0
	.section	.AMDGPU.csdata,"",@progbits
; Kernel info:
; codeLenInByte = 2264
; TotalNumSgprs: 10
; NumVgprs: 39
; ScratchSize: 0
; MemoryBound: 0
; FloatMode: 240
; IeeeMode: 1
; LDSByteSize: 1280 bytes/workgroup (compile time only)
; SGPRBlocks: 0
; VGPRBlocks: 2
; NumSGPRsForWavesPerEU: 10
; NumVGPRsForWavesPerEU: 39
; NamedBarCnt: 0
; Occupancy: 16
; WaveLimiterHint : 0
; COMPUTE_PGM_RSRC2:SCRATCH_EN: 0
; COMPUTE_PGM_RSRC2:USER_SGPR: 2
; COMPUTE_PGM_RSRC2:TRAP_HANDLER: 0
; COMPUTE_PGM_RSRC2:TGID_X_EN: 1
; COMPUTE_PGM_RSRC2:TGID_Y_EN: 0
; COMPUTE_PGM_RSRC2:TGID_Z_EN: 0
; COMPUTE_PGM_RSRC2:TIDIG_COMP_CNT: 0
	.section	.text._ZN9rocsparseL44gtsv_nopivot_strided_batch_pcr_shared_kernelILj64EdEEviiiPKT0_S3_S3_PS1_,"axG",@progbits,_ZN9rocsparseL44gtsv_nopivot_strided_batch_pcr_shared_kernelILj64EdEEviiiPKT0_S3_S3_PS1_,comdat
	.globl	_ZN9rocsparseL44gtsv_nopivot_strided_batch_pcr_shared_kernelILj64EdEEviiiPKT0_S3_S3_PS1_ ; -- Begin function _ZN9rocsparseL44gtsv_nopivot_strided_batch_pcr_shared_kernelILj64EdEEviiiPKT0_S3_S3_PS1_
	.p2align	8
	.type	_ZN9rocsparseL44gtsv_nopivot_strided_batch_pcr_shared_kernelILj64EdEEviiiPKT0_S3_S3_PS1_,@function
_ZN9rocsparseL44gtsv_nopivot_strided_batch_pcr_shared_kernelILj64EdEEviiiPKT0_S3_S3_PS1_: ; @_ZN9rocsparseL44gtsv_nopivot_strided_batch_pcr_shared_kernelILj64EdEEviiiPKT0_S3_S3_PS1_
; %bb.0:
	s_clause 0x1
	s_load_b32 s2, s[0:1], 0x8
	s_load_b32 s3, s[0:1], 0x0
	s_bfe_u32 s4, ttmp6, 0x4000c
	s_and_b32 s5, ttmp6, 15
	s_add_co_i32 s4, s4, 1
	s_getreg_b32 s6, hwreg(HW_REG_IB_STS2, 6, 4)
	s_mul_i32 s4, ttmp9, s4
	v_mov_b64_e32 v[4:5], 0
	s_add_co_i32 s5, s5, s4
	s_cmp_eq_u32 s6, 0
	v_mov_b64_e32 v[2:3], 0
	s_cselect_b32 s4, ttmp9, s5
	s_wait_kmcnt 0x0
	v_mad_u32 v1, s2, s4, v0
	v_cmp_gt_i32_e64 s2, s3, v0
	s_and_saveexec_b32 s4, s2
	s_cbranch_execz .LBB34_2
; %bb.1:
	s_load_b64 s[6:7], s[0:1], 0x10
	s_wait_kmcnt 0x0
	global_load_b64 v[2:3], v1, s[6:7] scale_offset
.LBB34_2:
	s_wait_xcnt 0x0
	s_or_b32 exec_lo, exec_lo, s4
	v_lshlrev_b32_e32 v8, 3, v0
	s_wait_loadcnt 0x0
	ds_store_b64 v8, v[2:3]
	s_and_saveexec_b32 s4, s2
	s_cbranch_execz .LBB34_4
; %bb.3:
	s_load_b64 s[6:7], s[0:1], 0x18
	s_wait_kmcnt 0x0
	global_load_b64 v[4:5], v1, s[6:7] scale_offset
.LBB34_4:
	s_wait_xcnt 0x0
	s_or_b32 exec_lo, exec_lo, s4
	s_load_b64 s[4:5], s[0:1], 0x28
	v_mov_b64_e32 v[2:3], 0
	v_mov_b64_e32 v[6:7], 0
	s_wait_loadcnt 0x0
	ds_store_b64 v8, v[4:5] offset:512
	s_and_saveexec_b32 s6, s2
	s_cbranch_execz .LBB34_6
; %bb.5:
	s_wait_xcnt 0x0
	s_load_b64 s[0:1], s[0:1], 0x20
	s_wait_kmcnt 0x0
	global_load_b64 v[6:7], v1, s[0:1] scale_offset
.LBB34_6:
	s_wait_xcnt 0x0
	s_or_b32 exec_lo, exec_lo, s6
	v_or_b32_e32 v4, 0x200, v8
	v_or_b32_e32 v5, 0x400, v8
	s_wait_loadcnt 0x0
	ds_store_b64 v8, v[6:7] offset:1024
	s_and_saveexec_b32 s0, s2
	s_cbranch_execz .LBB34_8
; %bb.7:
	s_wait_kmcnt 0x0
	global_load_b64 v[2:3], v1, s[4:5] scale_offset
.LBB34_8:
	s_wait_xcnt 0x0
	s_or_b32 exec_lo, exec_lo, s0
	v_sub_nc_u32_e64 v6, v0, 1 clamp
	s_wait_loadcnt 0x0
	ds_store_b64 v8, v[2:3] offset:2048
	s_wait_dscnt 0x0
	s_barrier_signal -1
	s_barrier_wait -1
	v_lshlrev_b32_e32 v9, 3, v6
	s_add_co_i32 s1, s3, -1
	ds_load_b64 v[2:3], v8
	ds_load_2addr_stride64_b64 v[10:13], v9 offset1:1
	v_add_min_i32_e64 v14, v0, 1, s1
	ds_load_b64 v[6:7], v8 offset:2048
	s_wait_dscnt 0x1
	v_div_scale_f64 v[18:19], null, v[12:13], v[12:13], v[2:3]
	v_div_scale_f64 v[34:35], vcc_lo, v[2:3], v[12:13], v[2:3]
	v_lshlrev_b32_e32 v38, 3, v14
	ds_load_2addr_stride64_b64 v[14:17], v38 offset1:1
	ds_load_b64 v[22:23], v5
	ds_load_b64 v[24:25], v4
	s_wait_dscnt 0x1
	v_div_scale_f64 v[20:21], null, v[16:17], v[16:17], v[22:23]
	v_rcp_f64_e32 v[26:27], v[18:19]
	s_delay_alu instid0(VALU_DEP_1) | instskip(NEXT) | instid1(TRANS32_DEP_2)
	v_rcp_f64_e32 v[28:29], v[20:21]
	v_fma_f64 v[30:31], -v[18:19], v[26:27], 1.0
	s_delay_alu instid0(TRANS32_DEP_1) | instskip(NEXT) | instid1(VALU_DEP_2)
	v_fma_f64 v[32:33], -v[20:21], v[28:29], 1.0
	v_fmac_f64_e32 v[26:27], v[26:27], v[30:31]
	s_delay_alu instid0(VALU_DEP_2) | instskip(NEXT) | instid1(VALU_DEP_2)
	v_fmac_f64_e32 v[28:29], v[28:29], v[32:33]
	v_fma_f64 v[30:31], -v[18:19], v[26:27], 1.0
	s_delay_alu instid0(VALU_DEP_2) | instskip(NEXT) | instid1(VALU_DEP_2)
	v_fma_f64 v[32:33], -v[20:21], v[28:29], 1.0
	v_fmac_f64_e32 v[26:27], v[26:27], v[30:31]
	v_div_scale_f64 v[30:31], s0, v[22:23], v[16:17], v[22:23]
	s_delay_alu instid0(VALU_DEP_3) | instskip(NEXT) | instid1(VALU_DEP_3)
	v_fmac_f64_e32 v[28:29], v[28:29], v[32:33]
	v_mul_f64_e32 v[32:33], v[34:35], v[26:27]
	s_delay_alu instid0(VALU_DEP_2) | instskip(NEXT) | instid1(VALU_DEP_2)
	v_mul_f64_e32 v[36:37], v[30:31], v[28:29]
	v_fma_f64 v[18:19], -v[18:19], v[32:33], v[34:35]
	s_delay_alu instid0(VALU_DEP_2) | instskip(NEXT) | instid1(VALU_DEP_2)
	v_fma_f64 v[20:21], -v[20:21], v[36:37], v[30:31]
	v_div_fmas_f64 v[18:19], v[18:19], v[26:27], v[32:33]
	s_mov_b32 vcc_lo, s0
	s_delay_alu instid0(VALU_DEP_2) | instskip(NEXT) | instid1(VALU_DEP_2)
	v_div_fmas_f64 v[26:27], v[20:21], v[28:29], v[36:37]
	v_div_fixup_f64 v[2:3], v[18:19], v[12:13], v[2:3]
	ds_load_2addr_stride64_b64 v[18:21], v9 offset0:2 offset1:4
	v_sub_nc_u32_e64 v9, v0, 2 clamp
	s_delay_alu instid0(VALU_DEP_1)
	v_lshlrev_b32_e32 v9, 3, v9
	v_div_fixup_f64 v[12:13], v[26:27], v[16:17], v[22:23]
	s_wait_dscnt 0x0
	v_fma_f64 v[22:23], -v[2:3], v[18:19], v[24:25]
	v_fma_f64 v[6:7], -v[2:3], v[20:21], v[6:7]
	ds_load_2addr_stride64_b64 v[16:19], v38 offset0:2 offset1:4
	v_mul_f64_e64 v[2:3], v[2:3], -v[10:11]
	s_wait_dscnt 0x0
	s_barrier_signal -1
	s_barrier_wait -1
	v_mul_f64_e64 v[10:11], v[12:13], -v[16:17]
	v_fma_f64 v[14:15], -v[12:13], v[14:15], v[22:23]
	v_fma_f64 v[6:7], -v[12:13], v[18:19], v[6:7]
	ds_store_b64 v4, v[14:15]
	ds_store_b64 v8, v[6:7] offset:2048
	ds_store_b64 v8, v[2:3]
	ds_store_b64 v5, v[10:11]
	s_wait_dscnt 0x0
	s_barrier_signal -1
	s_barrier_wait -1
	ds_load_b64 v[2:3], v8
	ds_load_2addr_stride64_b64 v[10:13], v9 offset1:1
	v_add_min_i32_e64 v14, v0, 2, s1
	ds_load_b64 v[6:7], v8 offset:2048
	v_lshlrev_b32_e32 v38, 3, v14
	ds_load_2addr_stride64_b64 v[14:17], v38 offset1:1
	ds_load_b64 v[22:23], v5
	ds_load_b64 v[24:25], v4
	s_wait_dscnt 0x4
	v_div_scale_f64 v[18:19], null, v[12:13], v[12:13], v[2:3]
	v_div_scale_f64 v[34:35], vcc_lo, v[2:3], v[12:13], v[2:3]
	s_wait_dscnt 0x1
	v_div_scale_f64 v[20:21], null, v[16:17], v[16:17], v[22:23]
	s_delay_alu instid0(VALU_DEP_3) | instskip(NEXT) | instid1(VALU_DEP_1)
	v_rcp_f64_e32 v[26:27], v[18:19]
	v_rcp_f64_e32 v[28:29], v[20:21]
	s_delay_alu instid0(TRANS32_DEP_2) | instskip(NEXT) | instid1(TRANS32_DEP_1)
	v_fma_f64 v[30:31], -v[18:19], v[26:27], 1.0
	v_fma_f64 v[32:33], -v[20:21], v[28:29], 1.0
	s_delay_alu instid0(VALU_DEP_2) | instskip(NEXT) | instid1(VALU_DEP_2)
	v_fmac_f64_e32 v[26:27], v[26:27], v[30:31]
	v_fmac_f64_e32 v[28:29], v[28:29], v[32:33]
	s_delay_alu instid0(VALU_DEP_2) | instskip(NEXT) | instid1(VALU_DEP_2)
	v_fma_f64 v[30:31], -v[18:19], v[26:27], 1.0
	v_fma_f64 v[32:33], -v[20:21], v[28:29], 1.0
	s_delay_alu instid0(VALU_DEP_2) | instskip(SKIP_1) | instid1(VALU_DEP_3)
	v_fmac_f64_e32 v[26:27], v[26:27], v[30:31]
	v_div_scale_f64 v[30:31], s0, v[22:23], v[16:17], v[22:23]
	v_fmac_f64_e32 v[28:29], v[28:29], v[32:33]
	s_delay_alu instid0(VALU_DEP_3) | instskip(NEXT) | instid1(VALU_DEP_2)
	v_mul_f64_e32 v[32:33], v[34:35], v[26:27]
	v_mul_f64_e32 v[36:37], v[30:31], v[28:29]
	s_delay_alu instid0(VALU_DEP_2) | instskip(NEXT) | instid1(VALU_DEP_2)
	v_fma_f64 v[18:19], -v[18:19], v[32:33], v[34:35]
	v_fma_f64 v[20:21], -v[20:21], v[36:37], v[30:31]
	s_delay_alu instid0(VALU_DEP_2) | instskip(SKIP_1) | instid1(VALU_DEP_2)
	v_div_fmas_f64 v[18:19], v[18:19], v[26:27], v[32:33]
	s_mov_b32 vcc_lo, s0
	v_div_fmas_f64 v[26:27], v[20:21], v[28:29], v[36:37]
	s_delay_alu instid0(VALU_DEP_2) | instskip(SKIP_2) | instid1(VALU_DEP_1)
	v_div_fixup_f64 v[2:3], v[18:19], v[12:13], v[2:3]
	ds_load_2addr_stride64_b64 v[18:21], v9 offset0:2 offset1:4
	v_sub_nc_u32_e64 v9, v0, 4 clamp
	v_lshlrev_b32_e32 v9, 3, v9
	v_div_fixup_f64 v[12:13], v[26:27], v[16:17], v[22:23]
	s_wait_dscnt 0x0
	v_fma_f64 v[22:23], -v[2:3], v[18:19], v[24:25]
	v_fma_f64 v[6:7], -v[2:3], v[20:21], v[6:7]
	ds_load_2addr_stride64_b64 v[16:19], v38 offset0:2 offset1:4
	v_mul_f64_e64 v[2:3], v[2:3], -v[10:11]
	s_wait_dscnt 0x0
	s_barrier_signal -1
	s_barrier_wait -1
	v_mul_f64_e64 v[10:11], v[12:13], -v[16:17]
	v_fma_f64 v[14:15], -v[12:13], v[14:15], v[22:23]
	v_fma_f64 v[6:7], -v[12:13], v[18:19], v[6:7]
	ds_store_b64 v4, v[14:15]
	ds_store_b64 v8, v[6:7] offset:2048
	ds_store_b64 v8, v[2:3]
	ds_store_b64 v5, v[10:11]
	s_wait_dscnt 0x0
	s_barrier_signal -1
	s_barrier_wait -1
	ds_load_b64 v[2:3], v8
	ds_load_2addr_stride64_b64 v[10:13], v9 offset1:1
	v_add_min_i32_e64 v14, v0, 4, s1
	ds_load_b64 v[6:7], v8 offset:2048
	v_lshlrev_b32_e32 v38, 3, v14
	ds_load_2addr_stride64_b64 v[14:17], v38 offset1:1
	ds_load_b64 v[22:23], v5
	ds_load_b64 v[24:25], v4
	s_wait_dscnt 0x4
	v_div_scale_f64 v[18:19], null, v[12:13], v[12:13], v[2:3]
	v_div_scale_f64 v[34:35], vcc_lo, v[2:3], v[12:13], v[2:3]
	s_wait_dscnt 0x1
	v_div_scale_f64 v[20:21], null, v[16:17], v[16:17], v[22:23]
	s_delay_alu instid0(VALU_DEP_3) | instskip(NEXT) | instid1(VALU_DEP_1)
	v_rcp_f64_e32 v[26:27], v[18:19]
	v_rcp_f64_e32 v[28:29], v[20:21]
	s_delay_alu instid0(TRANS32_DEP_2) | instskip(NEXT) | instid1(TRANS32_DEP_1)
	v_fma_f64 v[30:31], -v[18:19], v[26:27], 1.0
	v_fma_f64 v[32:33], -v[20:21], v[28:29], 1.0
	s_delay_alu instid0(VALU_DEP_2) | instskip(NEXT) | instid1(VALU_DEP_2)
	v_fmac_f64_e32 v[26:27], v[26:27], v[30:31]
	v_fmac_f64_e32 v[28:29], v[28:29], v[32:33]
	s_delay_alu instid0(VALU_DEP_2) | instskip(NEXT) | instid1(VALU_DEP_2)
	v_fma_f64 v[30:31], -v[18:19], v[26:27], 1.0
	v_fma_f64 v[32:33], -v[20:21], v[28:29], 1.0
	s_delay_alu instid0(VALU_DEP_2) | instskip(SKIP_1) | instid1(VALU_DEP_3)
	v_fmac_f64_e32 v[26:27], v[26:27], v[30:31]
	v_div_scale_f64 v[30:31], s0, v[22:23], v[16:17], v[22:23]
	v_fmac_f64_e32 v[28:29], v[28:29], v[32:33]
	s_delay_alu instid0(VALU_DEP_3) | instskip(NEXT) | instid1(VALU_DEP_2)
	v_mul_f64_e32 v[32:33], v[34:35], v[26:27]
	v_mul_f64_e32 v[36:37], v[30:31], v[28:29]
	s_delay_alu instid0(VALU_DEP_2) | instskip(NEXT) | instid1(VALU_DEP_2)
	v_fma_f64 v[18:19], -v[18:19], v[32:33], v[34:35]
	v_fma_f64 v[20:21], -v[20:21], v[36:37], v[30:31]
	s_delay_alu instid0(VALU_DEP_2) | instskip(SKIP_1) | instid1(VALU_DEP_2)
	v_div_fmas_f64 v[18:19], v[18:19], v[26:27], v[32:33]
	s_mov_b32 vcc_lo, s0
	v_div_fmas_f64 v[26:27], v[20:21], v[28:29], v[36:37]
	s_delay_alu instid0(VALU_DEP_2) | instskip(SKIP_2) | instid1(VALU_DEP_1)
	v_div_fixup_f64 v[2:3], v[18:19], v[12:13], v[2:3]
	ds_load_2addr_stride64_b64 v[18:21], v9 offset0:2 offset1:4
	v_sub_nc_u32_e64 v9, v0, 8 clamp
	;; [unrolled: 63-line block ×3, first 2 shown]
	v_lshlrev_b32_e32 v9, 3, v9
	v_div_fixup_f64 v[12:13], v[26:27], v[16:17], v[22:23]
	s_wait_dscnt 0x0
	v_fma_f64 v[22:23], -v[2:3], v[18:19], v[24:25]
	v_fma_f64 v[6:7], -v[2:3], v[20:21], v[6:7]
	ds_load_2addr_stride64_b64 v[16:19], v38 offset0:2 offset1:4
	v_mul_f64_e64 v[2:3], v[2:3], -v[10:11]
	s_wait_dscnt 0x0
	s_barrier_signal -1
	s_barrier_wait -1
	v_mul_f64_e64 v[10:11], v[12:13], -v[16:17]
	v_fma_f64 v[14:15], -v[12:13], v[14:15], v[22:23]
	v_fma_f64 v[6:7], -v[12:13], v[18:19], v[6:7]
	ds_store_b64 v4, v[14:15]
	ds_store_b64 v8, v[6:7] offset:2048
	ds_store_b64 v8, v[2:3]
	ds_store_b64 v5, v[10:11]
	s_wait_dscnt 0x0
	s_barrier_signal -1
	s_barrier_wait -1
	ds_load_b64 v[2:3], v8
	ds_load_2addr_stride64_b64 v[10:13], v9 offset1:1
	v_add_min_i32_e64 v14, v0, 16, s1
	ds_load_b64 v[6:7], v8 offset:2048
	v_lshlrev_b32_e32 v38, 3, v14
	ds_load_2addr_stride64_b64 v[14:17], v38 offset1:1
	ds_load_b64 v[22:23], v5
	ds_load_b64 v[24:25], v4
	s_wait_dscnt 0x4
	v_div_scale_f64 v[18:19], null, v[12:13], v[12:13], v[2:3]
	v_div_scale_f64 v[34:35], vcc_lo, v[2:3], v[12:13], v[2:3]
	s_wait_dscnt 0x1
	v_div_scale_f64 v[20:21], null, v[16:17], v[16:17], v[22:23]
	s_delay_alu instid0(VALU_DEP_3) | instskip(NEXT) | instid1(VALU_DEP_1)
	v_rcp_f64_e32 v[26:27], v[18:19]
	v_rcp_f64_e32 v[28:29], v[20:21]
	s_delay_alu instid0(TRANS32_DEP_2) | instskip(NEXT) | instid1(TRANS32_DEP_1)
	v_fma_f64 v[30:31], -v[18:19], v[26:27], 1.0
	v_fma_f64 v[32:33], -v[20:21], v[28:29], 1.0
	s_delay_alu instid0(VALU_DEP_2) | instskip(NEXT) | instid1(VALU_DEP_2)
	v_fmac_f64_e32 v[26:27], v[26:27], v[30:31]
	v_fmac_f64_e32 v[28:29], v[28:29], v[32:33]
	s_delay_alu instid0(VALU_DEP_2) | instskip(NEXT) | instid1(VALU_DEP_2)
	v_fma_f64 v[30:31], -v[18:19], v[26:27], 1.0
	v_fma_f64 v[32:33], -v[20:21], v[28:29], 1.0
	s_delay_alu instid0(VALU_DEP_2) | instskip(SKIP_1) | instid1(VALU_DEP_3)
	v_fmac_f64_e32 v[26:27], v[26:27], v[30:31]
	v_div_scale_f64 v[30:31], s0, v[22:23], v[16:17], v[22:23]
	v_fmac_f64_e32 v[28:29], v[28:29], v[32:33]
	s_delay_alu instid0(VALU_DEP_3) | instskip(NEXT) | instid1(VALU_DEP_2)
	v_mul_f64_e32 v[32:33], v[34:35], v[26:27]
	v_mul_f64_e32 v[36:37], v[30:31], v[28:29]
	s_delay_alu instid0(VALU_DEP_2) | instskip(NEXT) | instid1(VALU_DEP_2)
	v_fma_f64 v[18:19], -v[18:19], v[32:33], v[34:35]
	v_fma_f64 v[20:21], -v[20:21], v[36:37], v[30:31]
	s_delay_alu instid0(VALU_DEP_2) | instskip(SKIP_2) | instid1(VALU_DEP_2)
	v_div_fmas_f64 v[18:19], v[18:19], v[26:27], v[32:33]
	s_mov_b32 vcc_lo, s0
	s_mov_b32 s0, exec_lo
	v_div_fmas_f64 v[26:27], v[20:21], v[28:29], v[36:37]
	s_delay_alu instid0(VALU_DEP_2)
	v_div_fixup_f64 v[2:3], v[18:19], v[12:13], v[2:3]
	ds_load_2addr_stride64_b64 v[18:21], v9 offset0:2 offset1:4
	v_div_fixup_f64 v[12:13], v[26:27], v[16:17], v[22:23]
	s_wait_dscnt 0x0
	v_fma_f64 v[22:23], -v[2:3], v[18:19], v[24:25]
	v_fma_f64 v[6:7], -v[2:3], v[20:21], v[6:7]
	ds_load_2addr_stride64_b64 v[16:19], v38 offset0:2 offset1:4
	v_mul_f64_e64 v[2:3], v[2:3], -v[10:11]
	s_wait_dscnt 0x0
	s_barrier_signal -1
	s_barrier_wait -1
	v_mul_f64_e64 v[10:11], v[12:13], -v[16:17]
	v_fma_f64 v[14:15], -v[12:13], v[14:15], v[22:23]
	v_fma_f64 v[6:7], -v[12:13], v[18:19], v[6:7]
	ds_store_b64 v4, v[14:15]
	ds_store_b64 v8, v[6:7] offset:2048
	ds_store_b64 v8, v[2:3]
	ds_store_b64 v5, v[10:11]
	s_wait_dscnt 0x0
	s_barrier_signal -1
	s_barrier_wait -1
	v_cmpx_gt_u32_e32 32, v0
	s_cbranch_execz .LBB34_14
; %bb.9:
	v_or_b32_e32 v6, 32, v0
	v_or_b32_e32 v7, 0x800, v8
	s_mov_b32 s1, exec_lo
                                        ; implicit-def: $vgpr2_vgpr3
	s_delay_alu instid0(VALU_DEP_2)
	v_cmpx_le_i32_e64 s3, v6
	s_xor_b32 s1, exec_lo, s1
	s_cbranch_execz .LBB34_11
; %bb.10:
	ds_load_b64 v[2:3], v7
	ds_load_b64 v[4:5], v4
	s_wait_dscnt 0x0
	v_div_scale_f64 v[6:7], null, v[4:5], v[4:5], v[2:3]
	s_delay_alu instid0(VALU_DEP_1) | instskip(SKIP_1) | instid1(TRANS32_DEP_1)
	v_rcp_f64_e32 v[10:11], v[6:7]
	v_nop
	v_fma_f64 v[12:13], -v[6:7], v[10:11], 1.0
	s_delay_alu instid0(VALU_DEP_1) | instskip(NEXT) | instid1(VALU_DEP_1)
	v_fmac_f64_e32 v[10:11], v[10:11], v[12:13]
	v_fma_f64 v[12:13], -v[6:7], v[10:11], 1.0
	s_delay_alu instid0(VALU_DEP_1) | instskip(SKIP_1) | instid1(VALU_DEP_1)
	v_fmac_f64_e32 v[10:11], v[10:11], v[12:13]
	v_div_scale_f64 v[12:13], vcc_lo, v[2:3], v[4:5], v[2:3]
	v_mul_f64_e32 v[14:15], v[12:13], v[10:11]
	s_delay_alu instid0(VALU_DEP_1) | instskip(NEXT) | instid1(VALU_DEP_1)
	v_fma_f64 v[6:7], -v[6:7], v[14:15], v[12:13]
	v_div_fmas_f64 v[6:7], v[6:7], v[10:11], v[14:15]
	s_delay_alu instid0(VALU_DEP_1)
	v_div_fixup_f64 v[2:3], v[6:7], v[4:5], v[2:3]
                                        ; implicit-def: $vgpr4
                                        ; implicit-def: $vgpr5
                                        ; implicit-def: $vgpr7
                                        ; implicit-def: $vgpr6
.LBB34_11:
	s_and_not1_saveexec_b32 s1, s1
	s_cbranch_execz .LBB34_13
; %bb.12:
	ds_load_b64 v[14:15], v5
	ds_load_b64 v[16:17], v8 offset:256
	ds_load_2addr_b64 v[2:5], v4 offset1:32
	v_mov_b32_e32 v0, v6
	s_wait_dscnt 0x1
	v_mul_f64_e32 v[10:11], v[14:15], v[16:17]
	s_wait_dscnt 0x0
	s_delay_alu instid0(VALU_DEP_1) | instskip(NEXT) | instid1(VALU_DEP_1)
	v_fma_f64 v[18:19], v[4:5], v[2:3], -v[10:11]
	v_div_scale_f64 v[10:11], null, v[18:19], v[18:19], 1.0
	v_div_scale_f64 v[22:23], vcc_lo, 1.0, v[18:19], 1.0
	s_delay_alu instid0(VALU_DEP_2) | instskip(SKIP_1) | instid1(TRANS32_DEP_1)
	v_rcp_f64_e32 v[20:21], v[10:11]
	v_nop
	v_fma_f64 v[12:13], -v[10:11], v[20:21], 1.0
	s_delay_alu instid0(VALU_DEP_1) | instskip(NEXT) | instid1(VALU_DEP_1)
	v_fmac_f64_e32 v[20:21], v[20:21], v[12:13]
	v_fma_f64 v[12:13], -v[10:11], v[20:21], 1.0
	s_delay_alu instid0(VALU_DEP_1) | instskip(NEXT) | instid1(VALU_DEP_1)
	v_fmac_f64_e32 v[20:21], v[20:21], v[12:13]
	v_mul_f64_e32 v[24:25], v[22:23], v[20:21]
	s_delay_alu instid0(VALU_DEP_1)
	v_fma_f64 v[22:23], -v[10:11], v[24:25], v[22:23]
	ds_load_2addr_b64 v[10:13], v7 offset1:32
	s_wait_dscnt 0x0
	v_mul_f64_e32 v[14:15], v[14:15], v[12:13]
	v_mul_f64_e32 v[16:17], v[16:17], v[10:11]
	v_div_fmas_f64 v[20:21], v[22:23], v[20:21], v[24:25]
	s_delay_alu instid0(VALU_DEP_3) | instskip(NEXT) | instid1(VALU_DEP_3)
	v_fma_f64 v[4:5], v[4:5], v[10:11], -v[14:15]
	v_fma_f64 v[2:3], v[2:3], v[12:13], -v[16:17]
	s_delay_alu instid0(VALU_DEP_3) | instskip(NEXT) | instid1(VALU_DEP_1)
	v_div_fixup_f64 v[18:19], v[20:21], v[18:19], 1.0
	v_mul_f64_e32 v[4:5], v[18:19], v[4:5]
	s_delay_alu instid0(VALU_DEP_3)
	v_mul_f64_e32 v[2:3], v[18:19], v[2:3]
	ds_store_b64 v8, v[4:5] offset:1536
.LBB34_13:
	s_or_b32 exec_lo, exec_lo, s1
	v_lshlrev_b32_e32 v0, 3, v0
	ds_store_b64 v0, v[2:3] offset:1536
.LBB34_14:
	s_or_b32 exec_lo, exec_lo, s0
	s_wait_dscnt 0x0
	s_barrier_signal -1
	s_barrier_wait -1
	s_and_saveexec_b32 s0, s2
	s_cbranch_execz .LBB34_16
; %bb.15:
	ds_load_b64 v[2:3], v8 offset:1536
	s_wait_dscnt 0x0
	s_wait_kmcnt 0x0
	global_store_b64 v1, v[2:3], s[4:5] scale_offset
.LBB34_16:
	s_endpgm
	.section	.rodata,"a",@progbits
	.p2align	6, 0x0
	.amdhsa_kernel _ZN9rocsparseL44gtsv_nopivot_strided_batch_pcr_shared_kernelILj64EdEEviiiPKT0_S3_S3_PS1_
		.amdhsa_group_segment_fixed_size 2560
		.amdhsa_private_segment_fixed_size 0
		.amdhsa_kernarg_size 48
		.amdhsa_user_sgpr_count 2
		.amdhsa_user_sgpr_dispatch_ptr 0
		.amdhsa_user_sgpr_queue_ptr 0
		.amdhsa_user_sgpr_kernarg_segment_ptr 1
		.amdhsa_user_sgpr_dispatch_id 0
		.amdhsa_user_sgpr_kernarg_preload_length 0
		.amdhsa_user_sgpr_kernarg_preload_offset 0
		.amdhsa_user_sgpr_private_segment_size 0
		.amdhsa_wavefront_size32 1
		.amdhsa_uses_dynamic_stack 0
		.amdhsa_enable_private_segment 0
		.amdhsa_system_sgpr_workgroup_id_x 1
		.amdhsa_system_sgpr_workgroup_id_y 0
		.amdhsa_system_sgpr_workgroup_id_z 0
		.amdhsa_system_sgpr_workgroup_info 0
		.amdhsa_system_vgpr_workitem_id 0
		.amdhsa_next_free_vgpr 39
		.amdhsa_next_free_sgpr 8
		.amdhsa_named_barrier_count 0
		.amdhsa_reserve_vcc 1
		.amdhsa_float_round_mode_32 0
		.amdhsa_float_round_mode_16_64 0
		.amdhsa_float_denorm_mode_32 3
		.amdhsa_float_denorm_mode_16_64 3
		.amdhsa_fp16_overflow 0
		.amdhsa_memory_ordered 1
		.amdhsa_forward_progress 1
		.amdhsa_inst_pref_size 22
		.amdhsa_round_robin_scheduling 0
		.amdhsa_exception_fp_ieee_invalid_op 0
		.amdhsa_exception_fp_denorm_src 0
		.amdhsa_exception_fp_ieee_div_zero 0
		.amdhsa_exception_fp_ieee_overflow 0
		.amdhsa_exception_fp_ieee_underflow 0
		.amdhsa_exception_fp_ieee_inexact 0
		.amdhsa_exception_int_div_zero 0
	.end_amdhsa_kernel
	.section	.text._ZN9rocsparseL44gtsv_nopivot_strided_batch_pcr_shared_kernelILj64EdEEviiiPKT0_S3_S3_PS1_,"axG",@progbits,_ZN9rocsparseL44gtsv_nopivot_strided_batch_pcr_shared_kernelILj64EdEEviiiPKT0_S3_S3_PS1_,comdat
.Lfunc_end34:
	.size	_ZN9rocsparseL44gtsv_nopivot_strided_batch_pcr_shared_kernelILj64EdEEviiiPKT0_S3_S3_PS1_, .Lfunc_end34-_ZN9rocsparseL44gtsv_nopivot_strided_batch_pcr_shared_kernelILj64EdEEviiiPKT0_S3_S3_PS1_
                                        ; -- End function
	.set _ZN9rocsparseL44gtsv_nopivot_strided_batch_pcr_shared_kernelILj64EdEEviiiPKT0_S3_S3_PS1_.num_vgpr, 39
	.set _ZN9rocsparseL44gtsv_nopivot_strided_batch_pcr_shared_kernelILj64EdEEviiiPKT0_S3_S3_PS1_.num_agpr, 0
	.set _ZN9rocsparseL44gtsv_nopivot_strided_batch_pcr_shared_kernelILj64EdEEviiiPKT0_S3_S3_PS1_.numbered_sgpr, 8
	.set _ZN9rocsparseL44gtsv_nopivot_strided_batch_pcr_shared_kernelILj64EdEEviiiPKT0_S3_S3_PS1_.num_named_barrier, 0
	.set _ZN9rocsparseL44gtsv_nopivot_strided_batch_pcr_shared_kernelILj64EdEEviiiPKT0_S3_S3_PS1_.private_seg_size, 0
	.set _ZN9rocsparseL44gtsv_nopivot_strided_batch_pcr_shared_kernelILj64EdEEviiiPKT0_S3_S3_PS1_.uses_vcc, 1
	.set _ZN9rocsparseL44gtsv_nopivot_strided_batch_pcr_shared_kernelILj64EdEEviiiPKT0_S3_S3_PS1_.uses_flat_scratch, 0
	.set _ZN9rocsparseL44gtsv_nopivot_strided_batch_pcr_shared_kernelILj64EdEEviiiPKT0_S3_S3_PS1_.has_dyn_sized_stack, 0
	.set _ZN9rocsparseL44gtsv_nopivot_strided_batch_pcr_shared_kernelILj64EdEEviiiPKT0_S3_S3_PS1_.has_recursion, 0
	.set _ZN9rocsparseL44gtsv_nopivot_strided_batch_pcr_shared_kernelILj64EdEEviiiPKT0_S3_S3_PS1_.has_indirect_call, 0
	.section	.AMDGPU.csdata,"",@progbits
; Kernel info:
; codeLenInByte = 2732
; TotalNumSgprs: 10
; NumVgprs: 39
; ScratchSize: 0
; MemoryBound: 0
; FloatMode: 240
; IeeeMode: 1
; LDSByteSize: 2560 bytes/workgroup (compile time only)
; SGPRBlocks: 0
; VGPRBlocks: 2
; NumSGPRsForWavesPerEU: 10
; NumVGPRsForWavesPerEU: 39
; NamedBarCnt: 0
; Occupancy: 16
; WaveLimiterHint : 0
; COMPUTE_PGM_RSRC2:SCRATCH_EN: 0
; COMPUTE_PGM_RSRC2:USER_SGPR: 2
; COMPUTE_PGM_RSRC2:TRAP_HANDLER: 0
; COMPUTE_PGM_RSRC2:TGID_X_EN: 1
; COMPUTE_PGM_RSRC2:TGID_Y_EN: 0
; COMPUTE_PGM_RSRC2:TGID_Z_EN: 0
; COMPUTE_PGM_RSRC2:TIDIG_COMP_CNT: 0
	.section	.text._ZN9rocsparseL44gtsv_nopivot_strided_batch_pcr_shared_kernelILj128EdEEviiiPKT0_S3_S3_PS1_,"axG",@progbits,_ZN9rocsparseL44gtsv_nopivot_strided_batch_pcr_shared_kernelILj128EdEEviiiPKT0_S3_S3_PS1_,comdat
	.globl	_ZN9rocsparseL44gtsv_nopivot_strided_batch_pcr_shared_kernelILj128EdEEviiiPKT0_S3_S3_PS1_ ; -- Begin function _ZN9rocsparseL44gtsv_nopivot_strided_batch_pcr_shared_kernelILj128EdEEviiiPKT0_S3_S3_PS1_
	.p2align	8
	.type	_ZN9rocsparseL44gtsv_nopivot_strided_batch_pcr_shared_kernelILj128EdEEviiiPKT0_S3_S3_PS1_,@function
_ZN9rocsparseL44gtsv_nopivot_strided_batch_pcr_shared_kernelILj128EdEEviiiPKT0_S3_S3_PS1_: ; @_ZN9rocsparseL44gtsv_nopivot_strided_batch_pcr_shared_kernelILj128EdEEviiiPKT0_S3_S3_PS1_
; %bb.0:
	s_clause 0x1
	s_load_b32 s2, s[0:1], 0x8
	s_load_b32 s3, s[0:1], 0x0
	s_bfe_u32 s4, ttmp6, 0x4000c
	s_and_b32 s5, ttmp6, 15
	s_add_co_i32 s4, s4, 1
	s_getreg_b32 s6, hwreg(HW_REG_IB_STS2, 6, 4)
	s_mul_i32 s4, ttmp9, s4
	v_mov_b64_e32 v[4:5], 0
	s_add_co_i32 s5, s5, s4
	s_cmp_eq_u32 s6, 0
	v_mov_b64_e32 v[2:3], 0
	s_cselect_b32 s4, ttmp9, s5
	s_wait_kmcnt 0x0
	v_mad_u32 v1, s2, s4, v0
	v_cmp_gt_i32_e64 s2, s3, v0
	s_and_saveexec_b32 s4, s2
	s_cbranch_execz .LBB35_2
; %bb.1:
	s_load_b64 s[6:7], s[0:1], 0x10
	s_wait_kmcnt 0x0
	global_load_b64 v[2:3], v1, s[6:7] scale_offset
.LBB35_2:
	s_wait_xcnt 0x0
	s_or_b32 exec_lo, exec_lo, s4
	v_lshlrev_b32_e32 v8, 3, v0
	s_wait_loadcnt 0x0
	ds_store_b64 v8, v[2:3]
	s_and_saveexec_b32 s4, s2
	s_cbranch_execz .LBB35_4
; %bb.3:
	s_load_b64 s[6:7], s[0:1], 0x18
	s_wait_kmcnt 0x0
	global_load_b64 v[4:5], v1, s[6:7] scale_offset
.LBB35_4:
	s_wait_xcnt 0x0
	s_or_b32 exec_lo, exec_lo, s4
	s_load_b64 s[4:5], s[0:1], 0x28
	v_mov_b64_e32 v[2:3], 0
	v_mov_b64_e32 v[6:7], 0
	s_wait_loadcnt 0x0
	ds_store_b64 v8, v[4:5] offset:1024
	s_and_saveexec_b32 s6, s2
	s_cbranch_execz .LBB35_6
; %bb.5:
	s_wait_xcnt 0x0
	s_load_b64 s[0:1], s[0:1], 0x20
	s_wait_kmcnt 0x0
	global_load_b64 v[6:7], v1, s[0:1] scale_offset
.LBB35_6:
	s_wait_xcnt 0x0
	s_or_b32 exec_lo, exec_lo, s6
	v_or_b32_e32 v4, 0x400, v8
	v_or_b32_e32 v5, 0x800, v8
	s_wait_loadcnt 0x0
	ds_store_b64 v8, v[6:7] offset:2048
	s_and_saveexec_b32 s0, s2
	s_cbranch_execz .LBB35_8
; %bb.7:
	s_wait_kmcnt 0x0
	global_load_b64 v[2:3], v1, s[4:5] scale_offset
.LBB35_8:
	s_wait_xcnt 0x0
	s_or_b32 exec_lo, exec_lo, s0
	v_sub_nc_u32_e64 v6, v0, 1 clamp
	s_wait_loadcnt 0x0
	ds_store_b64 v8, v[2:3] offset:4096
	s_wait_dscnt 0x0
	s_barrier_signal -1
	s_barrier_wait -1
	v_lshlrev_b32_e32 v9, 3, v6
	s_add_co_i32 s1, s3, -1
	ds_load_b64 v[2:3], v8
	ds_load_2addr_stride64_b64 v[10:13], v9 offset1:2
	v_add_min_i32_e64 v14, v0, 1, s1
	ds_load_b64 v[6:7], v8 offset:4096
	s_wait_dscnt 0x1
	v_div_scale_f64 v[18:19], null, v[12:13], v[12:13], v[2:3]
	v_div_scale_f64 v[34:35], vcc_lo, v[2:3], v[12:13], v[2:3]
	v_lshlrev_b32_e32 v38, 3, v14
	ds_load_2addr_stride64_b64 v[14:17], v38 offset1:2
	ds_load_b64 v[22:23], v5
	ds_load_b64 v[24:25], v4
	s_wait_dscnt 0x1
	v_div_scale_f64 v[20:21], null, v[16:17], v[16:17], v[22:23]
	v_rcp_f64_e32 v[26:27], v[18:19]
	s_delay_alu instid0(VALU_DEP_1) | instskip(NEXT) | instid1(TRANS32_DEP_2)
	v_rcp_f64_e32 v[28:29], v[20:21]
	v_fma_f64 v[30:31], -v[18:19], v[26:27], 1.0
	s_delay_alu instid0(TRANS32_DEP_1) | instskip(NEXT) | instid1(VALU_DEP_2)
	v_fma_f64 v[32:33], -v[20:21], v[28:29], 1.0
	v_fmac_f64_e32 v[26:27], v[26:27], v[30:31]
	s_delay_alu instid0(VALU_DEP_2) | instskip(NEXT) | instid1(VALU_DEP_2)
	v_fmac_f64_e32 v[28:29], v[28:29], v[32:33]
	v_fma_f64 v[30:31], -v[18:19], v[26:27], 1.0
	s_delay_alu instid0(VALU_DEP_2) | instskip(NEXT) | instid1(VALU_DEP_2)
	v_fma_f64 v[32:33], -v[20:21], v[28:29], 1.0
	v_fmac_f64_e32 v[26:27], v[26:27], v[30:31]
	v_div_scale_f64 v[30:31], s0, v[22:23], v[16:17], v[22:23]
	s_delay_alu instid0(VALU_DEP_3) | instskip(NEXT) | instid1(VALU_DEP_3)
	v_fmac_f64_e32 v[28:29], v[28:29], v[32:33]
	v_mul_f64_e32 v[32:33], v[34:35], v[26:27]
	s_delay_alu instid0(VALU_DEP_2) | instskip(NEXT) | instid1(VALU_DEP_2)
	v_mul_f64_e32 v[36:37], v[30:31], v[28:29]
	v_fma_f64 v[18:19], -v[18:19], v[32:33], v[34:35]
	s_delay_alu instid0(VALU_DEP_2) | instskip(NEXT) | instid1(VALU_DEP_2)
	v_fma_f64 v[20:21], -v[20:21], v[36:37], v[30:31]
	v_div_fmas_f64 v[18:19], v[18:19], v[26:27], v[32:33]
	s_mov_b32 vcc_lo, s0
	s_delay_alu instid0(VALU_DEP_2) | instskip(NEXT) | instid1(VALU_DEP_2)
	v_div_fmas_f64 v[26:27], v[20:21], v[28:29], v[36:37]
	v_div_fixup_f64 v[2:3], v[18:19], v[12:13], v[2:3]
	ds_load_2addr_stride64_b64 v[18:21], v9 offset0:4 offset1:8
	v_sub_nc_u32_e64 v9, v0, 2 clamp
	s_delay_alu instid0(VALU_DEP_1)
	v_lshlrev_b32_e32 v9, 3, v9
	v_div_fixup_f64 v[12:13], v[26:27], v[16:17], v[22:23]
	s_wait_dscnt 0x0
	v_fma_f64 v[22:23], -v[2:3], v[18:19], v[24:25]
	v_fma_f64 v[6:7], -v[2:3], v[20:21], v[6:7]
	ds_load_2addr_stride64_b64 v[16:19], v38 offset0:4 offset1:8
	v_mul_f64_e64 v[2:3], v[2:3], -v[10:11]
	s_wait_dscnt 0x0
	s_barrier_signal -1
	s_barrier_wait -1
	v_mul_f64_e64 v[10:11], v[12:13], -v[16:17]
	v_fma_f64 v[14:15], -v[12:13], v[14:15], v[22:23]
	v_fma_f64 v[6:7], -v[12:13], v[18:19], v[6:7]
	ds_store_b64 v4, v[14:15]
	ds_store_b64 v8, v[6:7] offset:4096
	ds_store_b64 v8, v[2:3]
	ds_store_b64 v5, v[10:11]
	s_wait_dscnt 0x0
	s_barrier_signal -1
	s_barrier_wait -1
	ds_load_b64 v[2:3], v8
	ds_load_2addr_stride64_b64 v[10:13], v9 offset1:2
	v_add_min_i32_e64 v14, v0, 2, s1
	ds_load_b64 v[6:7], v8 offset:4096
	v_lshlrev_b32_e32 v38, 3, v14
	ds_load_2addr_stride64_b64 v[14:17], v38 offset1:2
	ds_load_b64 v[22:23], v5
	ds_load_b64 v[24:25], v4
	s_wait_dscnt 0x4
	v_div_scale_f64 v[18:19], null, v[12:13], v[12:13], v[2:3]
	v_div_scale_f64 v[34:35], vcc_lo, v[2:3], v[12:13], v[2:3]
	s_wait_dscnt 0x1
	v_div_scale_f64 v[20:21], null, v[16:17], v[16:17], v[22:23]
	s_delay_alu instid0(VALU_DEP_3) | instskip(NEXT) | instid1(VALU_DEP_1)
	v_rcp_f64_e32 v[26:27], v[18:19]
	v_rcp_f64_e32 v[28:29], v[20:21]
	s_delay_alu instid0(TRANS32_DEP_2) | instskip(NEXT) | instid1(TRANS32_DEP_1)
	v_fma_f64 v[30:31], -v[18:19], v[26:27], 1.0
	v_fma_f64 v[32:33], -v[20:21], v[28:29], 1.0
	s_delay_alu instid0(VALU_DEP_2) | instskip(NEXT) | instid1(VALU_DEP_2)
	v_fmac_f64_e32 v[26:27], v[26:27], v[30:31]
	v_fmac_f64_e32 v[28:29], v[28:29], v[32:33]
	s_delay_alu instid0(VALU_DEP_2) | instskip(NEXT) | instid1(VALU_DEP_2)
	v_fma_f64 v[30:31], -v[18:19], v[26:27], 1.0
	v_fma_f64 v[32:33], -v[20:21], v[28:29], 1.0
	s_delay_alu instid0(VALU_DEP_2) | instskip(SKIP_1) | instid1(VALU_DEP_3)
	v_fmac_f64_e32 v[26:27], v[26:27], v[30:31]
	v_div_scale_f64 v[30:31], s0, v[22:23], v[16:17], v[22:23]
	v_fmac_f64_e32 v[28:29], v[28:29], v[32:33]
	s_delay_alu instid0(VALU_DEP_3) | instskip(NEXT) | instid1(VALU_DEP_2)
	v_mul_f64_e32 v[32:33], v[34:35], v[26:27]
	v_mul_f64_e32 v[36:37], v[30:31], v[28:29]
	s_delay_alu instid0(VALU_DEP_2) | instskip(NEXT) | instid1(VALU_DEP_2)
	v_fma_f64 v[18:19], -v[18:19], v[32:33], v[34:35]
	v_fma_f64 v[20:21], -v[20:21], v[36:37], v[30:31]
	s_delay_alu instid0(VALU_DEP_2) | instskip(SKIP_1) | instid1(VALU_DEP_2)
	v_div_fmas_f64 v[18:19], v[18:19], v[26:27], v[32:33]
	s_mov_b32 vcc_lo, s0
	v_div_fmas_f64 v[26:27], v[20:21], v[28:29], v[36:37]
	s_delay_alu instid0(VALU_DEP_2) | instskip(SKIP_2) | instid1(VALU_DEP_1)
	v_div_fixup_f64 v[2:3], v[18:19], v[12:13], v[2:3]
	ds_load_2addr_stride64_b64 v[18:21], v9 offset0:4 offset1:8
	v_sub_nc_u32_e64 v9, v0, 4 clamp
	v_lshlrev_b32_e32 v9, 3, v9
	v_div_fixup_f64 v[12:13], v[26:27], v[16:17], v[22:23]
	s_wait_dscnt 0x0
	v_fma_f64 v[22:23], -v[2:3], v[18:19], v[24:25]
	v_fma_f64 v[6:7], -v[2:3], v[20:21], v[6:7]
	ds_load_2addr_stride64_b64 v[16:19], v38 offset0:4 offset1:8
	v_mul_f64_e64 v[2:3], v[2:3], -v[10:11]
	s_wait_dscnt 0x0
	s_barrier_signal -1
	s_barrier_wait -1
	v_mul_f64_e64 v[10:11], v[12:13], -v[16:17]
	v_fma_f64 v[14:15], -v[12:13], v[14:15], v[22:23]
	v_fma_f64 v[6:7], -v[12:13], v[18:19], v[6:7]
	ds_store_b64 v4, v[14:15]
	ds_store_b64 v8, v[6:7] offset:4096
	ds_store_b64 v8, v[2:3]
	ds_store_b64 v5, v[10:11]
	s_wait_dscnt 0x0
	s_barrier_signal -1
	s_barrier_wait -1
	ds_load_b64 v[2:3], v8
	ds_load_2addr_stride64_b64 v[10:13], v9 offset1:2
	v_add_min_i32_e64 v14, v0, 4, s1
	ds_load_b64 v[6:7], v8 offset:4096
	v_lshlrev_b32_e32 v38, 3, v14
	ds_load_2addr_stride64_b64 v[14:17], v38 offset1:2
	ds_load_b64 v[22:23], v5
	ds_load_b64 v[24:25], v4
	s_wait_dscnt 0x4
	v_div_scale_f64 v[18:19], null, v[12:13], v[12:13], v[2:3]
	v_div_scale_f64 v[34:35], vcc_lo, v[2:3], v[12:13], v[2:3]
	s_wait_dscnt 0x1
	v_div_scale_f64 v[20:21], null, v[16:17], v[16:17], v[22:23]
	s_delay_alu instid0(VALU_DEP_3) | instskip(NEXT) | instid1(VALU_DEP_1)
	v_rcp_f64_e32 v[26:27], v[18:19]
	v_rcp_f64_e32 v[28:29], v[20:21]
	s_delay_alu instid0(TRANS32_DEP_2) | instskip(NEXT) | instid1(TRANS32_DEP_1)
	v_fma_f64 v[30:31], -v[18:19], v[26:27], 1.0
	v_fma_f64 v[32:33], -v[20:21], v[28:29], 1.0
	s_delay_alu instid0(VALU_DEP_2) | instskip(NEXT) | instid1(VALU_DEP_2)
	v_fmac_f64_e32 v[26:27], v[26:27], v[30:31]
	v_fmac_f64_e32 v[28:29], v[28:29], v[32:33]
	s_delay_alu instid0(VALU_DEP_2) | instskip(NEXT) | instid1(VALU_DEP_2)
	v_fma_f64 v[30:31], -v[18:19], v[26:27], 1.0
	v_fma_f64 v[32:33], -v[20:21], v[28:29], 1.0
	s_delay_alu instid0(VALU_DEP_2) | instskip(SKIP_1) | instid1(VALU_DEP_3)
	v_fmac_f64_e32 v[26:27], v[26:27], v[30:31]
	v_div_scale_f64 v[30:31], s0, v[22:23], v[16:17], v[22:23]
	v_fmac_f64_e32 v[28:29], v[28:29], v[32:33]
	s_delay_alu instid0(VALU_DEP_3) | instskip(NEXT) | instid1(VALU_DEP_2)
	v_mul_f64_e32 v[32:33], v[34:35], v[26:27]
	v_mul_f64_e32 v[36:37], v[30:31], v[28:29]
	s_delay_alu instid0(VALU_DEP_2) | instskip(NEXT) | instid1(VALU_DEP_2)
	v_fma_f64 v[18:19], -v[18:19], v[32:33], v[34:35]
	v_fma_f64 v[20:21], -v[20:21], v[36:37], v[30:31]
	s_delay_alu instid0(VALU_DEP_2) | instskip(SKIP_1) | instid1(VALU_DEP_2)
	v_div_fmas_f64 v[18:19], v[18:19], v[26:27], v[32:33]
	s_mov_b32 vcc_lo, s0
	v_div_fmas_f64 v[26:27], v[20:21], v[28:29], v[36:37]
	s_delay_alu instid0(VALU_DEP_2) | instskip(SKIP_2) | instid1(VALU_DEP_1)
	v_div_fixup_f64 v[2:3], v[18:19], v[12:13], v[2:3]
	ds_load_2addr_stride64_b64 v[18:21], v9 offset0:4 offset1:8
	v_sub_nc_u32_e64 v9, v0, 8 clamp
	;; [unrolled: 63-line block ×4, first 2 shown]
	v_lshlrev_b32_e32 v9, 3, v9
	v_div_fixup_f64 v[12:13], v[26:27], v[16:17], v[22:23]
	s_wait_dscnt 0x0
	v_fma_f64 v[22:23], -v[2:3], v[18:19], v[24:25]
	v_fma_f64 v[6:7], -v[2:3], v[20:21], v[6:7]
	ds_load_2addr_stride64_b64 v[16:19], v38 offset0:4 offset1:8
	v_mul_f64_e64 v[2:3], v[2:3], -v[10:11]
	s_wait_dscnt 0x0
	s_barrier_signal -1
	s_barrier_wait -1
	v_mul_f64_e64 v[10:11], v[12:13], -v[16:17]
	v_fma_f64 v[14:15], -v[12:13], v[14:15], v[22:23]
	v_fma_f64 v[6:7], -v[12:13], v[18:19], v[6:7]
	ds_store_b64 v4, v[14:15]
	ds_store_b64 v8, v[6:7] offset:4096
	ds_store_b64 v8, v[2:3]
	ds_store_b64 v5, v[10:11]
	s_wait_dscnt 0x0
	s_barrier_signal -1
	s_barrier_wait -1
	ds_load_b64 v[2:3], v8
	ds_load_2addr_stride64_b64 v[10:13], v9 offset1:2
	v_add_min_i32_e64 v14, v0, 32, s1
	ds_load_b64 v[6:7], v8 offset:4096
	v_lshlrev_b32_e32 v38, 3, v14
	ds_load_2addr_stride64_b64 v[14:17], v38 offset1:2
	ds_load_b64 v[22:23], v5
	ds_load_b64 v[24:25], v4
	s_wait_dscnt 0x4
	v_div_scale_f64 v[18:19], null, v[12:13], v[12:13], v[2:3]
	v_div_scale_f64 v[34:35], vcc_lo, v[2:3], v[12:13], v[2:3]
	s_wait_dscnt 0x1
	v_div_scale_f64 v[20:21], null, v[16:17], v[16:17], v[22:23]
	s_delay_alu instid0(VALU_DEP_3) | instskip(NEXT) | instid1(VALU_DEP_1)
	v_rcp_f64_e32 v[26:27], v[18:19]
	v_rcp_f64_e32 v[28:29], v[20:21]
	s_delay_alu instid0(TRANS32_DEP_2) | instskip(NEXT) | instid1(TRANS32_DEP_1)
	v_fma_f64 v[30:31], -v[18:19], v[26:27], 1.0
	v_fma_f64 v[32:33], -v[20:21], v[28:29], 1.0
	s_delay_alu instid0(VALU_DEP_2) | instskip(NEXT) | instid1(VALU_DEP_2)
	v_fmac_f64_e32 v[26:27], v[26:27], v[30:31]
	v_fmac_f64_e32 v[28:29], v[28:29], v[32:33]
	s_delay_alu instid0(VALU_DEP_2) | instskip(NEXT) | instid1(VALU_DEP_2)
	v_fma_f64 v[30:31], -v[18:19], v[26:27], 1.0
	v_fma_f64 v[32:33], -v[20:21], v[28:29], 1.0
	s_delay_alu instid0(VALU_DEP_2) | instskip(SKIP_1) | instid1(VALU_DEP_3)
	v_fmac_f64_e32 v[26:27], v[26:27], v[30:31]
	v_div_scale_f64 v[30:31], s0, v[22:23], v[16:17], v[22:23]
	v_fmac_f64_e32 v[28:29], v[28:29], v[32:33]
	s_delay_alu instid0(VALU_DEP_3) | instskip(NEXT) | instid1(VALU_DEP_2)
	v_mul_f64_e32 v[32:33], v[34:35], v[26:27]
	v_mul_f64_e32 v[36:37], v[30:31], v[28:29]
	s_delay_alu instid0(VALU_DEP_2) | instskip(NEXT) | instid1(VALU_DEP_2)
	v_fma_f64 v[18:19], -v[18:19], v[32:33], v[34:35]
	v_fma_f64 v[20:21], -v[20:21], v[36:37], v[30:31]
	s_delay_alu instid0(VALU_DEP_2) | instskip(SKIP_2) | instid1(VALU_DEP_2)
	v_div_fmas_f64 v[18:19], v[18:19], v[26:27], v[32:33]
	s_mov_b32 vcc_lo, s0
	s_mov_b32 s0, exec_lo
	v_div_fmas_f64 v[26:27], v[20:21], v[28:29], v[36:37]
	s_delay_alu instid0(VALU_DEP_2)
	v_div_fixup_f64 v[2:3], v[18:19], v[12:13], v[2:3]
	ds_load_2addr_stride64_b64 v[18:21], v9 offset0:4 offset1:8
	v_div_fixup_f64 v[12:13], v[26:27], v[16:17], v[22:23]
	s_wait_dscnt 0x0
	v_fma_f64 v[22:23], -v[2:3], v[18:19], v[24:25]
	v_fma_f64 v[6:7], -v[2:3], v[20:21], v[6:7]
	ds_load_2addr_stride64_b64 v[16:19], v38 offset0:4 offset1:8
	v_mul_f64_e64 v[2:3], v[2:3], -v[10:11]
	s_wait_dscnt 0x0
	s_barrier_signal -1
	s_barrier_wait -1
	v_mul_f64_e64 v[10:11], v[12:13], -v[16:17]
	v_fma_f64 v[14:15], -v[12:13], v[14:15], v[22:23]
	v_fma_f64 v[6:7], -v[12:13], v[18:19], v[6:7]
	ds_store_b64 v4, v[14:15]
	ds_store_b64 v8, v[6:7] offset:4096
	ds_store_b64 v8, v[2:3]
	ds_store_b64 v5, v[10:11]
	s_wait_dscnt 0x0
	s_barrier_signal -1
	s_barrier_wait -1
	v_cmpx_gt_u32_e32 64, v0
	s_cbranch_execz .LBB35_14
; %bb.9:
	v_or_b32_e32 v6, 64, v0
	v_or_b32_e32 v7, 0x1000, v8
	s_mov_b32 s1, exec_lo
                                        ; implicit-def: $vgpr2_vgpr3
	s_delay_alu instid0(VALU_DEP_2)
	v_cmpx_le_i32_e64 s3, v6
	s_xor_b32 s1, exec_lo, s1
	s_cbranch_execz .LBB35_11
; %bb.10:
	ds_load_b64 v[2:3], v7
	ds_load_b64 v[4:5], v4
	s_wait_dscnt 0x0
	v_div_scale_f64 v[6:7], null, v[4:5], v[4:5], v[2:3]
	s_delay_alu instid0(VALU_DEP_1) | instskip(SKIP_1) | instid1(TRANS32_DEP_1)
	v_rcp_f64_e32 v[10:11], v[6:7]
	v_nop
	v_fma_f64 v[12:13], -v[6:7], v[10:11], 1.0
	s_delay_alu instid0(VALU_DEP_1) | instskip(NEXT) | instid1(VALU_DEP_1)
	v_fmac_f64_e32 v[10:11], v[10:11], v[12:13]
	v_fma_f64 v[12:13], -v[6:7], v[10:11], 1.0
	s_delay_alu instid0(VALU_DEP_1) | instskip(SKIP_1) | instid1(VALU_DEP_1)
	v_fmac_f64_e32 v[10:11], v[10:11], v[12:13]
	v_div_scale_f64 v[12:13], vcc_lo, v[2:3], v[4:5], v[2:3]
	v_mul_f64_e32 v[14:15], v[12:13], v[10:11]
	s_delay_alu instid0(VALU_DEP_1) | instskip(NEXT) | instid1(VALU_DEP_1)
	v_fma_f64 v[6:7], -v[6:7], v[14:15], v[12:13]
	v_div_fmas_f64 v[6:7], v[6:7], v[10:11], v[14:15]
	s_delay_alu instid0(VALU_DEP_1)
	v_div_fixup_f64 v[2:3], v[6:7], v[4:5], v[2:3]
                                        ; implicit-def: $vgpr4
                                        ; implicit-def: $vgpr5
                                        ; implicit-def: $vgpr7
                                        ; implicit-def: $vgpr6
.LBB35_11:
	s_and_not1_saveexec_b32 s1, s1
	s_cbranch_execz .LBB35_13
; %bb.12:
	ds_load_b64 v[14:15], v5
	ds_load_b64 v[16:17], v8 offset:512
	ds_load_2addr_stride64_b64 v[2:5], v4 offset1:1
	v_mov_b32_e32 v0, v6
	s_wait_dscnt 0x1
	v_mul_f64_e32 v[10:11], v[14:15], v[16:17]
	s_wait_dscnt 0x0
	s_delay_alu instid0(VALU_DEP_1) | instskip(NEXT) | instid1(VALU_DEP_1)
	v_fma_f64 v[18:19], v[4:5], v[2:3], -v[10:11]
	v_div_scale_f64 v[10:11], null, v[18:19], v[18:19], 1.0
	v_div_scale_f64 v[22:23], vcc_lo, 1.0, v[18:19], 1.0
	s_delay_alu instid0(VALU_DEP_2) | instskip(SKIP_1) | instid1(TRANS32_DEP_1)
	v_rcp_f64_e32 v[20:21], v[10:11]
	v_nop
	v_fma_f64 v[12:13], -v[10:11], v[20:21], 1.0
	s_delay_alu instid0(VALU_DEP_1) | instskip(NEXT) | instid1(VALU_DEP_1)
	v_fmac_f64_e32 v[20:21], v[20:21], v[12:13]
	v_fma_f64 v[12:13], -v[10:11], v[20:21], 1.0
	s_delay_alu instid0(VALU_DEP_1) | instskip(NEXT) | instid1(VALU_DEP_1)
	v_fmac_f64_e32 v[20:21], v[20:21], v[12:13]
	v_mul_f64_e32 v[24:25], v[22:23], v[20:21]
	s_delay_alu instid0(VALU_DEP_1)
	v_fma_f64 v[22:23], -v[10:11], v[24:25], v[22:23]
	ds_load_2addr_stride64_b64 v[10:13], v7 offset1:1
	s_wait_dscnt 0x0
	v_mul_f64_e32 v[14:15], v[14:15], v[12:13]
	v_mul_f64_e32 v[16:17], v[16:17], v[10:11]
	v_div_fmas_f64 v[20:21], v[22:23], v[20:21], v[24:25]
	s_delay_alu instid0(VALU_DEP_3) | instskip(NEXT) | instid1(VALU_DEP_3)
	v_fma_f64 v[4:5], v[4:5], v[10:11], -v[14:15]
	v_fma_f64 v[2:3], v[2:3], v[12:13], -v[16:17]
	s_delay_alu instid0(VALU_DEP_3) | instskip(NEXT) | instid1(VALU_DEP_1)
	v_div_fixup_f64 v[18:19], v[20:21], v[18:19], 1.0
	v_mul_f64_e32 v[4:5], v[18:19], v[4:5]
	s_delay_alu instid0(VALU_DEP_3)
	v_mul_f64_e32 v[2:3], v[18:19], v[2:3]
	ds_store_b64 v8, v[4:5] offset:3072
.LBB35_13:
	s_or_b32 exec_lo, exec_lo, s1
	v_lshlrev_b32_e32 v0, 3, v0
	ds_store_b64 v0, v[2:3] offset:3072
.LBB35_14:
	s_or_b32 exec_lo, exec_lo, s0
	s_wait_dscnt 0x0
	s_barrier_signal -1
	s_barrier_wait -1
	s_and_saveexec_b32 s0, s2
	s_cbranch_execz .LBB35_16
; %bb.15:
	ds_load_b64 v[2:3], v8 offset:3072
	s_wait_dscnt 0x0
	s_wait_kmcnt 0x0
	global_store_b64 v1, v[2:3], s[4:5] scale_offset
.LBB35_16:
	s_endpgm
	.section	.rodata,"a",@progbits
	.p2align	6, 0x0
	.amdhsa_kernel _ZN9rocsparseL44gtsv_nopivot_strided_batch_pcr_shared_kernelILj128EdEEviiiPKT0_S3_S3_PS1_
		.amdhsa_group_segment_fixed_size 5120
		.amdhsa_private_segment_fixed_size 0
		.amdhsa_kernarg_size 48
		.amdhsa_user_sgpr_count 2
		.amdhsa_user_sgpr_dispatch_ptr 0
		.amdhsa_user_sgpr_queue_ptr 0
		.amdhsa_user_sgpr_kernarg_segment_ptr 1
		.amdhsa_user_sgpr_dispatch_id 0
		.amdhsa_user_sgpr_kernarg_preload_length 0
		.amdhsa_user_sgpr_kernarg_preload_offset 0
		.amdhsa_user_sgpr_private_segment_size 0
		.amdhsa_wavefront_size32 1
		.amdhsa_uses_dynamic_stack 0
		.amdhsa_enable_private_segment 0
		.amdhsa_system_sgpr_workgroup_id_x 1
		.amdhsa_system_sgpr_workgroup_id_y 0
		.amdhsa_system_sgpr_workgroup_id_z 0
		.amdhsa_system_sgpr_workgroup_info 0
		.amdhsa_system_vgpr_workitem_id 0
		.amdhsa_next_free_vgpr 39
		.amdhsa_next_free_sgpr 8
		.amdhsa_named_barrier_count 0
		.amdhsa_reserve_vcc 1
		.amdhsa_float_round_mode_32 0
		.amdhsa_float_round_mode_16_64 0
		.amdhsa_float_denorm_mode_32 3
		.amdhsa_float_denorm_mode_16_64 3
		.amdhsa_fp16_overflow 0
		.amdhsa_memory_ordered 1
		.amdhsa_forward_progress 1
		.amdhsa_inst_pref_size 25
		.amdhsa_round_robin_scheduling 0
		.amdhsa_exception_fp_ieee_invalid_op 0
		.amdhsa_exception_fp_denorm_src 0
		.amdhsa_exception_fp_ieee_div_zero 0
		.amdhsa_exception_fp_ieee_overflow 0
		.amdhsa_exception_fp_ieee_underflow 0
		.amdhsa_exception_fp_ieee_inexact 0
		.amdhsa_exception_int_div_zero 0
	.end_amdhsa_kernel
	.section	.text._ZN9rocsparseL44gtsv_nopivot_strided_batch_pcr_shared_kernelILj128EdEEviiiPKT0_S3_S3_PS1_,"axG",@progbits,_ZN9rocsparseL44gtsv_nopivot_strided_batch_pcr_shared_kernelILj128EdEEviiiPKT0_S3_S3_PS1_,comdat
.Lfunc_end35:
	.size	_ZN9rocsparseL44gtsv_nopivot_strided_batch_pcr_shared_kernelILj128EdEEviiiPKT0_S3_S3_PS1_, .Lfunc_end35-_ZN9rocsparseL44gtsv_nopivot_strided_batch_pcr_shared_kernelILj128EdEEviiiPKT0_S3_S3_PS1_
                                        ; -- End function
	.set _ZN9rocsparseL44gtsv_nopivot_strided_batch_pcr_shared_kernelILj128EdEEviiiPKT0_S3_S3_PS1_.num_vgpr, 39
	.set _ZN9rocsparseL44gtsv_nopivot_strided_batch_pcr_shared_kernelILj128EdEEviiiPKT0_S3_S3_PS1_.num_agpr, 0
	.set _ZN9rocsparseL44gtsv_nopivot_strided_batch_pcr_shared_kernelILj128EdEEviiiPKT0_S3_S3_PS1_.numbered_sgpr, 8
	.set _ZN9rocsparseL44gtsv_nopivot_strided_batch_pcr_shared_kernelILj128EdEEviiiPKT0_S3_S3_PS1_.num_named_barrier, 0
	.set _ZN9rocsparseL44gtsv_nopivot_strided_batch_pcr_shared_kernelILj128EdEEviiiPKT0_S3_S3_PS1_.private_seg_size, 0
	.set _ZN9rocsparseL44gtsv_nopivot_strided_batch_pcr_shared_kernelILj128EdEEviiiPKT0_S3_S3_PS1_.uses_vcc, 1
	.set _ZN9rocsparseL44gtsv_nopivot_strided_batch_pcr_shared_kernelILj128EdEEviiiPKT0_S3_S3_PS1_.uses_flat_scratch, 0
	.set _ZN9rocsparseL44gtsv_nopivot_strided_batch_pcr_shared_kernelILj128EdEEviiiPKT0_S3_S3_PS1_.has_dyn_sized_stack, 0
	.set _ZN9rocsparseL44gtsv_nopivot_strided_batch_pcr_shared_kernelILj128EdEEviiiPKT0_S3_S3_PS1_.has_recursion, 0
	.set _ZN9rocsparseL44gtsv_nopivot_strided_batch_pcr_shared_kernelILj128EdEEviiiPKT0_S3_S3_PS1_.has_indirect_call, 0
	.section	.AMDGPU.csdata,"",@progbits
; Kernel info:
; codeLenInByte = 3120
; TotalNumSgprs: 10
; NumVgprs: 39
; ScratchSize: 0
; MemoryBound: 0
; FloatMode: 240
; IeeeMode: 1
; LDSByteSize: 5120 bytes/workgroup (compile time only)
; SGPRBlocks: 0
; VGPRBlocks: 2
; NumSGPRsForWavesPerEU: 10
; NumVGPRsForWavesPerEU: 39
; NamedBarCnt: 0
; Occupancy: 16
; WaveLimiterHint : 0
; COMPUTE_PGM_RSRC2:SCRATCH_EN: 0
; COMPUTE_PGM_RSRC2:USER_SGPR: 2
; COMPUTE_PGM_RSRC2:TRAP_HANDLER: 0
; COMPUTE_PGM_RSRC2:TGID_X_EN: 1
; COMPUTE_PGM_RSRC2:TGID_Y_EN: 0
; COMPUTE_PGM_RSRC2:TGID_Z_EN: 0
; COMPUTE_PGM_RSRC2:TIDIG_COMP_CNT: 0
	.section	.text._ZN9rocsparseL44gtsv_nopivot_strided_batch_pcr_shared_kernelILj256EdEEviiiPKT0_S3_S3_PS1_,"axG",@progbits,_ZN9rocsparseL44gtsv_nopivot_strided_batch_pcr_shared_kernelILj256EdEEviiiPKT0_S3_S3_PS1_,comdat
	.globl	_ZN9rocsparseL44gtsv_nopivot_strided_batch_pcr_shared_kernelILj256EdEEviiiPKT0_S3_S3_PS1_ ; -- Begin function _ZN9rocsparseL44gtsv_nopivot_strided_batch_pcr_shared_kernelILj256EdEEviiiPKT0_S3_S3_PS1_
	.p2align	8
	.type	_ZN9rocsparseL44gtsv_nopivot_strided_batch_pcr_shared_kernelILj256EdEEviiiPKT0_S3_S3_PS1_,@function
_ZN9rocsparseL44gtsv_nopivot_strided_batch_pcr_shared_kernelILj256EdEEviiiPKT0_S3_S3_PS1_: ; @_ZN9rocsparseL44gtsv_nopivot_strided_batch_pcr_shared_kernelILj256EdEEviiiPKT0_S3_S3_PS1_
; %bb.0:
	s_clause 0x1
	s_load_b32 s2, s[0:1], 0x8
	s_load_b32 s3, s[0:1], 0x0
	s_bfe_u32 s4, ttmp6, 0x4000c
	s_and_b32 s5, ttmp6, 15
	s_add_co_i32 s4, s4, 1
	s_getreg_b32 s6, hwreg(HW_REG_IB_STS2, 6, 4)
	s_mul_i32 s4, ttmp9, s4
	v_mov_b64_e32 v[4:5], 0
	s_add_co_i32 s5, s5, s4
	s_cmp_eq_u32 s6, 0
	v_mov_b64_e32 v[2:3], 0
	s_cselect_b32 s4, ttmp9, s5
	s_wait_kmcnt 0x0
	v_mad_u32 v1, s2, s4, v0
	v_cmp_gt_i32_e64 s2, s3, v0
	s_and_saveexec_b32 s4, s2
	s_cbranch_execz .LBB36_2
; %bb.1:
	s_load_b64 s[6:7], s[0:1], 0x10
	s_wait_kmcnt 0x0
	global_load_b64 v[2:3], v1, s[6:7] scale_offset
.LBB36_2:
	s_wait_xcnt 0x0
	s_or_b32 exec_lo, exec_lo, s4
	v_lshlrev_b32_e32 v8, 3, v0
	s_wait_loadcnt 0x0
	ds_store_b64 v8, v[2:3]
	s_and_saveexec_b32 s4, s2
	s_cbranch_execz .LBB36_4
; %bb.3:
	s_load_b64 s[6:7], s[0:1], 0x18
	s_wait_kmcnt 0x0
	global_load_b64 v[4:5], v1, s[6:7] scale_offset
.LBB36_4:
	s_wait_xcnt 0x0
	s_or_b32 exec_lo, exec_lo, s4
	s_load_b64 s[4:5], s[0:1], 0x28
	v_mov_b64_e32 v[2:3], 0
	v_mov_b64_e32 v[6:7], 0
	s_wait_loadcnt 0x0
	ds_store_b64 v8, v[4:5] offset:2048
	s_and_saveexec_b32 s6, s2
	s_cbranch_execz .LBB36_6
; %bb.5:
	s_wait_xcnt 0x0
	s_load_b64 s[0:1], s[0:1], 0x20
	s_wait_kmcnt 0x0
	global_load_b64 v[6:7], v1, s[0:1] scale_offset
.LBB36_6:
	s_wait_xcnt 0x0
	s_or_b32 exec_lo, exec_lo, s6
	v_or_b32_e32 v4, 0x800, v8
	v_or_b32_e32 v5, 0x1000, v8
	s_wait_loadcnt 0x0
	ds_store_b64 v8, v[6:7] offset:4096
	s_and_saveexec_b32 s0, s2
	s_cbranch_execz .LBB36_8
; %bb.7:
	s_wait_kmcnt 0x0
	global_load_b64 v[2:3], v1, s[4:5] scale_offset
.LBB36_8:
	s_wait_xcnt 0x0
	s_or_b32 exec_lo, exec_lo, s0
	v_sub_nc_u32_e64 v6, v0, 1 clamp
	s_wait_loadcnt 0x0
	ds_store_b64 v8, v[2:3] offset:8192
	s_wait_dscnt 0x0
	s_barrier_signal -1
	s_barrier_wait -1
	v_lshlrev_b32_e32 v9, 3, v6
	s_add_co_i32 s1, s3, -1
	ds_load_b64 v[2:3], v8
	ds_load_2addr_stride64_b64 v[10:13], v9 offset1:4
	v_add_min_i32_e64 v14, v0, 1, s1
	ds_load_b64 v[6:7], v8 offset:8192
	s_wait_dscnt 0x1
	v_div_scale_f64 v[18:19], null, v[12:13], v[12:13], v[2:3]
	v_div_scale_f64 v[34:35], vcc_lo, v[2:3], v[12:13], v[2:3]
	v_lshlrev_b32_e32 v38, 3, v14
	ds_load_2addr_stride64_b64 v[14:17], v38 offset1:4
	ds_load_b64 v[22:23], v5
	ds_load_b64 v[24:25], v4
	s_wait_dscnt 0x1
	v_div_scale_f64 v[20:21], null, v[16:17], v[16:17], v[22:23]
	v_rcp_f64_e32 v[26:27], v[18:19]
	s_delay_alu instid0(VALU_DEP_1) | instskip(NEXT) | instid1(TRANS32_DEP_2)
	v_rcp_f64_e32 v[28:29], v[20:21]
	v_fma_f64 v[30:31], -v[18:19], v[26:27], 1.0
	s_delay_alu instid0(TRANS32_DEP_1) | instskip(NEXT) | instid1(VALU_DEP_2)
	v_fma_f64 v[32:33], -v[20:21], v[28:29], 1.0
	v_fmac_f64_e32 v[26:27], v[26:27], v[30:31]
	s_delay_alu instid0(VALU_DEP_2) | instskip(NEXT) | instid1(VALU_DEP_2)
	v_fmac_f64_e32 v[28:29], v[28:29], v[32:33]
	v_fma_f64 v[30:31], -v[18:19], v[26:27], 1.0
	s_delay_alu instid0(VALU_DEP_2) | instskip(NEXT) | instid1(VALU_DEP_2)
	v_fma_f64 v[32:33], -v[20:21], v[28:29], 1.0
	v_fmac_f64_e32 v[26:27], v[26:27], v[30:31]
	v_div_scale_f64 v[30:31], s0, v[22:23], v[16:17], v[22:23]
	s_delay_alu instid0(VALU_DEP_3) | instskip(NEXT) | instid1(VALU_DEP_3)
	v_fmac_f64_e32 v[28:29], v[28:29], v[32:33]
	v_mul_f64_e32 v[32:33], v[34:35], v[26:27]
	s_delay_alu instid0(VALU_DEP_2) | instskip(NEXT) | instid1(VALU_DEP_2)
	v_mul_f64_e32 v[36:37], v[30:31], v[28:29]
	v_fma_f64 v[18:19], -v[18:19], v[32:33], v[34:35]
	s_delay_alu instid0(VALU_DEP_2) | instskip(NEXT) | instid1(VALU_DEP_2)
	v_fma_f64 v[20:21], -v[20:21], v[36:37], v[30:31]
	v_div_fmas_f64 v[18:19], v[18:19], v[26:27], v[32:33]
	s_mov_b32 vcc_lo, s0
	s_delay_alu instid0(VALU_DEP_2) | instskip(NEXT) | instid1(VALU_DEP_2)
	v_div_fmas_f64 v[26:27], v[20:21], v[28:29], v[36:37]
	v_div_fixup_f64 v[2:3], v[18:19], v[12:13], v[2:3]
	ds_load_2addr_stride64_b64 v[18:21], v9 offset0:8 offset1:16
	v_sub_nc_u32_e64 v9, v0, 2 clamp
	s_delay_alu instid0(VALU_DEP_1)
	v_lshlrev_b32_e32 v9, 3, v9
	v_div_fixup_f64 v[12:13], v[26:27], v[16:17], v[22:23]
	s_wait_dscnt 0x0
	v_fma_f64 v[22:23], -v[2:3], v[18:19], v[24:25]
	v_fma_f64 v[6:7], -v[2:3], v[20:21], v[6:7]
	ds_load_2addr_stride64_b64 v[16:19], v38 offset0:8 offset1:16
	v_mul_f64_e64 v[2:3], v[2:3], -v[10:11]
	s_wait_dscnt 0x0
	s_barrier_signal -1
	s_barrier_wait -1
	v_mul_f64_e64 v[10:11], v[12:13], -v[16:17]
	v_fma_f64 v[14:15], -v[12:13], v[14:15], v[22:23]
	v_fma_f64 v[6:7], -v[12:13], v[18:19], v[6:7]
	ds_store_b64 v4, v[14:15]
	ds_store_b64 v8, v[6:7] offset:8192
	ds_store_b64 v8, v[2:3]
	ds_store_b64 v5, v[10:11]
	s_wait_dscnt 0x0
	s_barrier_signal -1
	s_barrier_wait -1
	ds_load_b64 v[2:3], v8
	ds_load_2addr_stride64_b64 v[10:13], v9 offset1:4
	v_add_min_i32_e64 v14, v0, 2, s1
	ds_load_b64 v[6:7], v8 offset:8192
	v_lshlrev_b32_e32 v38, 3, v14
	ds_load_2addr_stride64_b64 v[14:17], v38 offset1:4
	ds_load_b64 v[22:23], v5
	ds_load_b64 v[24:25], v4
	s_wait_dscnt 0x4
	v_div_scale_f64 v[18:19], null, v[12:13], v[12:13], v[2:3]
	v_div_scale_f64 v[34:35], vcc_lo, v[2:3], v[12:13], v[2:3]
	s_wait_dscnt 0x1
	v_div_scale_f64 v[20:21], null, v[16:17], v[16:17], v[22:23]
	s_delay_alu instid0(VALU_DEP_3) | instskip(NEXT) | instid1(VALU_DEP_1)
	v_rcp_f64_e32 v[26:27], v[18:19]
	v_rcp_f64_e32 v[28:29], v[20:21]
	s_delay_alu instid0(TRANS32_DEP_2) | instskip(NEXT) | instid1(TRANS32_DEP_1)
	v_fma_f64 v[30:31], -v[18:19], v[26:27], 1.0
	v_fma_f64 v[32:33], -v[20:21], v[28:29], 1.0
	s_delay_alu instid0(VALU_DEP_2) | instskip(NEXT) | instid1(VALU_DEP_2)
	v_fmac_f64_e32 v[26:27], v[26:27], v[30:31]
	v_fmac_f64_e32 v[28:29], v[28:29], v[32:33]
	s_delay_alu instid0(VALU_DEP_2) | instskip(NEXT) | instid1(VALU_DEP_2)
	v_fma_f64 v[30:31], -v[18:19], v[26:27], 1.0
	v_fma_f64 v[32:33], -v[20:21], v[28:29], 1.0
	s_delay_alu instid0(VALU_DEP_2) | instskip(SKIP_1) | instid1(VALU_DEP_3)
	v_fmac_f64_e32 v[26:27], v[26:27], v[30:31]
	v_div_scale_f64 v[30:31], s0, v[22:23], v[16:17], v[22:23]
	v_fmac_f64_e32 v[28:29], v[28:29], v[32:33]
	s_delay_alu instid0(VALU_DEP_3) | instskip(NEXT) | instid1(VALU_DEP_2)
	v_mul_f64_e32 v[32:33], v[34:35], v[26:27]
	v_mul_f64_e32 v[36:37], v[30:31], v[28:29]
	s_delay_alu instid0(VALU_DEP_2) | instskip(NEXT) | instid1(VALU_DEP_2)
	v_fma_f64 v[18:19], -v[18:19], v[32:33], v[34:35]
	v_fma_f64 v[20:21], -v[20:21], v[36:37], v[30:31]
	s_delay_alu instid0(VALU_DEP_2) | instskip(SKIP_1) | instid1(VALU_DEP_2)
	v_div_fmas_f64 v[18:19], v[18:19], v[26:27], v[32:33]
	s_mov_b32 vcc_lo, s0
	v_div_fmas_f64 v[26:27], v[20:21], v[28:29], v[36:37]
	s_delay_alu instid0(VALU_DEP_2) | instskip(SKIP_2) | instid1(VALU_DEP_1)
	v_div_fixup_f64 v[2:3], v[18:19], v[12:13], v[2:3]
	ds_load_2addr_stride64_b64 v[18:21], v9 offset0:8 offset1:16
	v_sub_nc_u32_e64 v9, v0, 4 clamp
	v_lshlrev_b32_e32 v9, 3, v9
	v_div_fixup_f64 v[12:13], v[26:27], v[16:17], v[22:23]
	s_wait_dscnt 0x0
	v_fma_f64 v[22:23], -v[2:3], v[18:19], v[24:25]
	v_fma_f64 v[6:7], -v[2:3], v[20:21], v[6:7]
	ds_load_2addr_stride64_b64 v[16:19], v38 offset0:8 offset1:16
	v_mul_f64_e64 v[2:3], v[2:3], -v[10:11]
	s_wait_dscnt 0x0
	s_barrier_signal -1
	s_barrier_wait -1
	v_mul_f64_e64 v[10:11], v[12:13], -v[16:17]
	v_fma_f64 v[14:15], -v[12:13], v[14:15], v[22:23]
	v_fma_f64 v[6:7], -v[12:13], v[18:19], v[6:7]
	ds_store_b64 v4, v[14:15]
	ds_store_b64 v8, v[6:7] offset:8192
	ds_store_b64 v8, v[2:3]
	ds_store_b64 v5, v[10:11]
	s_wait_dscnt 0x0
	s_barrier_signal -1
	s_barrier_wait -1
	ds_load_b64 v[2:3], v8
	ds_load_2addr_stride64_b64 v[10:13], v9 offset1:4
	v_add_min_i32_e64 v14, v0, 4, s1
	ds_load_b64 v[6:7], v8 offset:8192
	v_lshlrev_b32_e32 v38, 3, v14
	ds_load_2addr_stride64_b64 v[14:17], v38 offset1:4
	ds_load_b64 v[22:23], v5
	ds_load_b64 v[24:25], v4
	s_wait_dscnt 0x4
	v_div_scale_f64 v[18:19], null, v[12:13], v[12:13], v[2:3]
	v_div_scale_f64 v[34:35], vcc_lo, v[2:3], v[12:13], v[2:3]
	s_wait_dscnt 0x1
	v_div_scale_f64 v[20:21], null, v[16:17], v[16:17], v[22:23]
	s_delay_alu instid0(VALU_DEP_3) | instskip(NEXT) | instid1(VALU_DEP_1)
	v_rcp_f64_e32 v[26:27], v[18:19]
	v_rcp_f64_e32 v[28:29], v[20:21]
	s_delay_alu instid0(TRANS32_DEP_2) | instskip(NEXT) | instid1(TRANS32_DEP_1)
	v_fma_f64 v[30:31], -v[18:19], v[26:27], 1.0
	v_fma_f64 v[32:33], -v[20:21], v[28:29], 1.0
	s_delay_alu instid0(VALU_DEP_2) | instskip(NEXT) | instid1(VALU_DEP_2)
	v_fmac_f64_e32 v[26:27], v[26:27], v[30:31]
	v_fmac_f64_e32 v[28:29], v[28:29], v[32:33]
	s_delay_alu instid0(VALU_DEP_2) | instskip(NEXT) | instid1(VALU_DEP_2)
	v_fma_f64 v[30:31], -v[18:19], v[26:27], 1.0
	v_fma_f64 v[32:33], -v[20:21], v[28:29], 1.0
	s_delay_alu instid0(VALU_DEP_2) | instskip(SKIP_1) | instid1(VALU_DEP_3)
	v_fmac_f64_e32 v[26:27], v[26:27], v[30:31]
	v_div_scale_f64 v[30:31], s0, v[22:23], v[16:17], v[22:23]
	v_fmac_f64_e32 v[28:29], v[28:29], v[32:33]
	s_delay_alu instid0(VALU_DEP_3) | instskip(NEXT) | instid1(VALU_DEP_2)
	v_mul_f64_e32 v[32:33], v[34:35], v[26:27]
	v_mul_f64_e32 v[36:37], v[30:31], v[28:29]
	s_delay_alu instid0(VALU_DEP_2) | instskip(NEXT) | instid1(VALU_DEP_2)
	v_fma_f64 v[18:19], -v[18:19], v[32:33], v[34:35]
	v_fma_f64 v[20:21], -v[20:21], v[36:37], v[30:31]
	s_delay_alu instid0(VALU_DEP_2) | instskip(SKIP_1) | instid1(VALU_DEP_2)
	v_div_fmas_f64 v[18:19], v[18:19], v[26:27], v[32:33]
	s_mov_b32 vcc_lo, s0
	v_div_fmas_f64 v[26:27], v[20:21], v[28:29], v[36:37]
	s_delay_alu instid0(VALU_DEP_2) | instskip(SKIP_2) | instid1(VALU_DEP_1)
	v_div_fixup_f64 v[2:3], v[18:19], v[12:13], v[2:3]
	ds_load_2addr_stride64_b64 v[18:21], v9 offset0:8 offset1:16
	v_sub_nc_u32_e64 v9, v0, 8 clamp
	v_lshlrev_b32_e32 v9, 3, v9
	v_div_fixup_f64 v[12:13], v[26:27], v[16:17], v[22:23]
	s_wait_dscnt 0x0
	v_fma_f64 v[22:23], -v[2:3], v[18:19], v[24:25]
	v_fma_f64 v[6:7], -v[2:3], v[20:21], v[6:7]
	ds_load_2addr_stride64_b64 v[16:19], v38 offset0:8 offset1:16
	v_mul_f64_e64 v[2:3], v[2:3], -v[10:11]
	s_wait_dscnt 0x0
	s_barrier_signal -1
	s_barrier_wait -1
	v_mul_f64_e64 v[10:11], v[12:13], -v[16:17]
	v_fma_f64 v[14:15], -v[12:13], v[14:15], v[22:23]
	v_fma_f64 v[6:7], -v[12:13], v[18:19], v[6:7]
	ds_store_b64 v4, v[14:15]
	ds_store_b64 v8, v[6:7] offset:8192
	ds_store_b64 v8, v[2:3]
	ds_store_b64 v5, v[10:11]
	s_wait_dscnt 0x0
	s_barrier_signal -1
	s_barrier_wait -1
	ds_load_b64 v[2:3], v8
	ds_load_2addr_stride64_b64 v[10:13], v9 offset1:4
	v_add_min_i32_e64 v14, v0, 8, s1
	ds_load_b64 v[6:7], v8 offset:8192
	v_lshlrev_b32_e32 v38, 3, v14
	ds_load_2addr_stride64_b64 v[14:17], v38 offset1:4
	ds_load_b64 v[22:23], v5
	ds_load_b64 v[24:25], v4
	s_wait_dscnt 0x4
	v_div_scale_f64 v[18:19], null, v[12:13], v[12:13], v[2:3]
	v_div_scale_f64 v[34:35], vcc_lo, v[2:3], v[12:13], v[2:3]
	s_wait_dscnt 0x1
	v_div_scale_f64 v[20:21], null, v[16:17], v[16:17], v[22:23]
	s_delay_alu instid0(VALU_DEP_3) | instskip(NEXT) | instid1(VALU_DEP_1)
	v_rcp_f64_e32 v[26:27], v[18:19]
	v_rcp_f64_e32 v[28:29], v[20:21]
	s_delay_alu instid0(TRANS32_DEP_2) | instskip(NEXT) | instid1(TRANS32_DEP_1)
	v_fma_f64 v[30:31], -v[18:19], v[26:27], 1.0
	v_fma_f64 v[32:33], -v[20:21], v[28:29], 1.0
	s_delay_alu instid0(VALU_DEP_2) | instskip(NEXT) | instid1(VALU_DEP_2)
	v_fmac_f64_e32 v[26:27], v[26:27], v[30:31]
	v_fmac_f64_e32 v[28:29], v[28:29], v[32:33]
	s_delay_alu instid0(VALU_DEP_2) | instskip(NEXT) | instid1(VALU_DEP_2)
	v_fma_f64 v[30:31], -v[18:19], v[26:27], 1.0
	v_fma_f64 v[32:33], -v[20:21], v[28:29], 1.0
	s_delay_alu instid0(VALU_DEP_2) | instskip(SKIP_1) | instid1(VALU_DEP_3)
	v_fmac_f64_e32 v[26:27], v[26:27], v[30:31]
	v_div_scale_f64 v[30:31], s0, v[22:23], v[16:17], v[22:23]
	v_fmac_f64_e32 v[28:29], v[28:29], v[32:33]
	s_delay_alu instid0(VALU_DEP_3) | instskip(NEXT) | instid1(VALU_DEP_2)
	v_mul_f64_e32 v[32:33], v[34:35], v[26:27]
	v_mul_f64_e32 v[36:37], v[30:31], v[28:29]
	s_delay_alu instid0(VALU_DEP_2) | instskip(NEXT) | instid1(VALU_DEP_2)
	v_fma_f64 v[18:19], -v[18:19], v[32:33], v[34:35]
	v_fma_f64 v[20:21], -v[20:21], v[36:37], v[30:31]
	s_delay_alu instid0(VALU_DEP_2) | instskip(SKIP_1) | instid1(VALU_DEP_2)
	v_div_fmas_f64 v[18:19], v[18:19], v[26:27], v[32:33]
	s_mov_b32 vcc_lo, s0
	v_div_fmas_f64 v[26:27], v[20:21], v[28:29], v[36:37]
	s_delay_alu instid0(VALU_DEP_2) | instskip(SKIP_2) | instid1(VALU_DEP_1)
	v_div_fixup_f64 v[2:3], v[18:19], v[12:13], v[2:3]
	ds_load_2addr_stride64_b64 v[18:21], v9 offset0:8 offset1:16
	v_sub_nc_u32_e64 v9, v0, 16 clamp
	v_lshlrev_b32_e32 v9, 3, v9
	v_div_fixup_f64 v[12:13], v[26:27], v[16:17], v[22:23]
	s_wait_dscnt 0x0
	v_fma_f64 v[22:23], -v[2:3], v[18:19], v[24:25]
	v_fma_f64 v[6:7], -v[2:3], v[20:21], v[6:7]
	ds_load_2addr_stride64_b64 v[16:19], v38 offset0:8 offset1:16
	v_mul_f64_e64 v[2:3], v[2:3], -v[10:11]
	s_wait_dscnt 0x0
	s_barrier_signal -1
	s_barrier_wait -1
	v_mul_f64_e64 v[10:11], v[12:13], -v[16:17]
	v_fma_f64 v[14:15], -v[12:13], v[14:15], v[22:23]
	v_fma_f64 v[6:7], -v[12:13], v[18:19], v[6:7]
	ds_store_b64 v4, v[14:15]
	ds_store_b64 v8, v[6:7] offset:8192
	ds_store_b64 v8, v[2:3]
	ds_store_b64 v5, v[10:11]
	s_wait_dscnt 0x0
	s_barrier_signal -1
	s_barrier_wait -1
	ds_load_b64 v[2:3], v8
	ds_load_2addr_stride64_b64 v[10:13], v9 offset1:4
	v_add_min_i32_e64 v14, v0, 16, s1
	ds_load_b64 v[6:7], v8 offset:8192
	v_lshlrev_b32_e32 v38, 3, v14
	ds_load_2addr_stride64_b64 v[14:17], v38 offset1:4
	ds_load_b64 v[22:23], v5
	ds_load_b64 v[24:25], v4
	s_wait_dscnt 0x4
	v_div_scale_f64 v[18:19], null, v[12:13], v[12:13], v[2:3]
	v_div_scale_f64 v[34:35], vcc_lo, v[2:3], v[12:13], v[2:3]
	s_wait_dscnt 0x1
	v_div_scale_f64 v[20:21], null, v[16:17], v[16:17], v[22:23]
	s_delay_alu instid0(VALU_DEP_3) | instskip(NEXT) | instid1(VALU_DEP_1)
	v_rcp_f64_e32 v[26:27], v[18:19]
	v_rcp_f64_e32 v[28:29], v[20:21]
	s_delay_alu instid0(TRANS32_DEP_2) | instskip(NEXT) | instid1(TRANS32_DEP_1)
	v_fma_f64 v[30:31], -v[18:19], v[26:27], 1.0
	v_fma_f64 v[32:33], -v[20:21], v[28:29], 1.0
	s_delay_alu instid0(VALU_DEP_2) | instskip(NEXT) | instid1(VALU_DEP_2)
	v_fmac_f64_e32 v[26:27], v[26:27], v[30:31]
	v_fmac_f64_e32 v[28:29], v[28:29], v[32:33]
	s_delay_alu instid0(VALU_DEP_2) | instskip(NEXT) | instid1(VALU_DEP_2)
	v_fma_f64 v[30:31], -v[18:19], v[26:27], 1.0
	v_fma_f64 v[32:33], -v[20:21], v[28:29], 1.0
	s_delay_alu instid0(VALU_DEP_2) | instskip(SKIP_1) | instid1(VALU_DEP_3)
	v_fmac_f64_e32 v[26:27], v[26:27], v[30:31]
	v_div_scale_f64 v[30:31], s0, v[22:23], v[16:17], v[22:23]
	v_fmac_f64_e32 v[28:29], v[28:29], v[32:33]
	s_delay_alu instid0(VALU_DEP_3) | instskip(NEXT) | instid1(VALU_DEP_2)
	v_mul_f64_e32 v[32:33], v[34:35], v[26:27]
	v_mul_f64_e32 v[36:37], v[30:31], v[28:29]
	s_delay_alu instid0(VALU_DEP_2) | instskip(NEXT) | instid1(VALU_DEP_2)
	v_fma_f64 v[18:19], -v[18:19], v[32:33], v[34:35]
	v_fma_f64 v[20:21], -v[20:21], v[36:37], v[30:31]
	s_delay_alu instid0(VALU_DEP_2) | instskip(SKIP_1) | instid1(VALU_DEP_2)
	v_div_fmas_f64 v[18:19], v[18:19], v[26:27], v[32:33]
	s_mov_b32 vcc_lo, s0
	v_div_fmas_f64 v[26:27], v[20:21], v[28:29], v[36:37]
	s_delay_alu instid0(VALU_DEP_2) | instskip(SKIP_2) | instid1(VALU_DEP_1)
	v_div_fixup_f64 v[2:3], v[18:19], v[12:13], v[2:3]
	ds_load_2addr_stride64_b64 v[18:21], v9 offset0:8 offset1:16
	v_sub_nc_u32_e64 v9, v0, 32 clamp
	v_lshlrev_b32_e32 v9, 3, v9
	v_div_fixup_f64 v[12:13], v[26:27], v[16:17], v[22:23]
	s_wait_dscnt 0x0
	v_fma_f64 v[22:23], -v[2:3], v[18:19], v[24:25]
	v_fma_f64 v[6:7], -v[2:3], v[20:21], v[6:7]
	ds_load_2addr_stride64_b64 v[16:19], v38 offset0:8 offset1:16
	v_mul_f64_e64 v[2:3], v[2:3], -v[10:11]
	s_wait_dscnt 0x0
	s_barrier_signal -1
	s_barrier_wait -1
	v_mul_f64_e64 v[10:11], v[12:13], -v[16:17]
	v_fma_f64 v[14:15], -v[12:13], v[14:15], v[22:23]
	v_fma_f64 v[6:7], -v[12:13], v[18:19], v[6:7]
	ds_store_b64 v4, v[14:15]
	ds_store_b64 v8, v[6:7] offset:8192
	ds_store_b64 v8, v[2:3]
	ds_store_b64 v5, v[10:11]
	s_wait_dscnt 0x0
	s_barrier_signal -1
	s_barrier_wait -1
	ds_load_b64 v[2:3], v8
	ds_load_2addr_stride64_b64 v[10:13], v9 offset1:4
	v_add_min_i32_e64 v14, v0, 32, s1
	ds_load_b64 v[6:7], v8 offset:8192
	v_lshlrev_b32_e32 v38, 3, v14
	ds_load_2addr_stride64_b64 v[14:17], v38 offset1:4
	ds_load_b64 v[22:23], v5
	ds_load_b64 v[24:25], v4
	s_wait_dscnt 0x4
	v_div_scale_f64 v[18:19], null, v[12:13], v[12:13], v[2:3]
	v_div_scale_f64 v[34:35], vcc_lo, v[2:3], v[12:13], v[2:3]
	s_wait_dscnt 0x1
	v_div_scale_f64 v[20:21], null, v[16:17], v[16:17], v[22:23]
	s_delay_alu instid0(VALU_DEP_3) | instskip(NEXT) | instid1(VALU_DEP_1)
	v_rcp_f64_e32 v[26:27], v[18:19]
	v_rcp_f64_e32 v[28:29], v[20:21]
	s_delay_alu instid0(TRANS32_DEP_2) | instskip(NEXT) | instid1(TRANS32_DEP_1)
	v_fma_f64 v[30:31], -v[18:19], v[26:27], 1.0
	v_fma_f64 v[32:33], -v[20:21], v[28:29], 1.0
	s_delay_alu instid0(VALU_DEP_2) | instskip(NEXT) | instid1(VALU_DEP_2)
	v_fmac_f64_e32 v[26:27], v[26:27], v[30:31]
	v_fmac_f64_e32 v[28:29], v[28:29], v[32:33]
	s_delay_alu instid0(VALU_DEP_2) | instskip(NEXT) | instid1(VALU_DEP_2)
	v_fma_f64 v[30:31], -v[18:19], v[26:27], 1.0
	v_fma_f64 v[32:33], -v[20:21], v[28:29], 1.0
	s_delay_alu instid0(VALU_DEP_2) | instskip(SKIP_1) | instid1(VALU_DEP_3)
	v_fmac_f64_e32 v[26:27], v[26:27], v[30:31]
	v_div_scale_f64 v[30:31], s0, v[22:23], v[16:17], v[22:23]
	v_fmac_f64_e32 v[28:29], v[28:29], v[32:33]
	s_delay_alu instid0(VALU_DEP_3) | instskip(NEXT) | instid1(VALU_DEP_2)
	v_mul_f64_e32 v[32:33], v[34:35], v[26:27]
	v_mul_f64_e32 v[36:37], v[30:31], v[28:29]
	s_delay_alu instid0(VALU_DEP_2) | instskip(NEXT) | instid1(VALU_DEP_2)
	v_fma_f64 v[18:19], -v[18:19], v[32:33], v[34:35]
	v_fma_f64 v[20:21], -v[20:21], v[36:37], v[30:31]
	s_delay_alu instid0(VALU_DEP_2) | instskip(SKIP_1) | instid1(VALU_DEP_2)
	v_div_fmas_f64 v[18:19], v[18:19], v[26:27], v[32:33]
	s_mov_b32 vcc_lo, s0
	v_div_fmas_f64 v[26:27], v[20:21], v[28:29], v[36:37]
	s_delay_alu instid0(VALU_DEP_2) | instskip(SKIP_2) | instid1(VALU_DEP_1)
	v_div_fixup_f64 v[2:3], v[18:19], v[12:13], v[2:3]
	ds_load_2addr_stride64_b64 v[18:21], v9 offset0:8 offset1:16
	v_sub_nc_u32_e64 v9, v0, 64 clamp
	v_lshlrev_b32_e32 v9, 3, v9
	v_div_fixup_f64 v[12:13], v[26:27], v[16:17], v[22:23]
	s_wait_dscnt 0x0
	v_fma_f64 v[22:23], -v[2:3], v[18:19], v[24:25]
	v_fma_f64 v[6:7], -v[2:3], v[20:21], v[6:7]
	ds_load_2addr_stride64_b64 v[16:19], v38 offset0:8 offset1:16
	v_mul_f64_e64 v[2:3], v[2:3], -v[10:11]
	s_wait_dscnt 0x0
	s_barrier_signal -1
	s_barrier_wait -1
	v_mul_f64_e64 v[10:11], v[12:13], -v[16:17]
	v_fma_f64 v[14:15], -v[12:13], v[14:15], v[22:23]
	v_fma_f64 v[6:7], -v[12:13], v[18:19], v[6:7]
	ds_store_b64 v4, v[14:15]
	ds_store_b64 v8, v[6:7] offset:8192
	ds_store_b64 v8, v[2:3]
	ds_store_b64 v5, v[10:11]
	s_wait_dscnt 0x0
	s_barrier_signal -1
	s_barrier_wait -1
	ds_load_b64 v[2:3], v8
	ds_load_2addr_stride64_b64 v[10:13], v9 offset1:4
	v_add_min_i32_e64 v14, v0, 64, s1
	ds_load_b64 v[6:7], v8 offset:8192
	v_lshlrev_b32_e32 v38, 3, v14
	ds_load_2addr_stride64_b64 v[14:17], v38 offset1:4
	ds_load_b64 v[22:23], v5
	ds_load_b64 v[24:25], v4
	s_wait_dscnt 0x4
	v_div_scale_f64 v[18:19], null, v[12:13], v[12:13], v[2:3]
	v_div_scale_f64 v[34:35], vcc_lo, v[2:3], v[12:13], v[2:3]
	s_wait_dscnt 0x1
	v_div_scale_f64 v[20:21], null, v[16:17], v[16:17], v[22:23]
	s_delay_alu instid0(VALU_DEP_3) | instskip(NEXT) | instid1(VALU_DEP_1)
	v_rcp_f64_e32 v[26:27], v[18:19]
	v_rcp_f64_e32 v[28:29], v[20:21]
	s_delay_alu instid0(TRANS32_DEP_2) | instskip(NEXT) | instid1(TRANS32_DEP_1)
	v_fma_f64 v[30:31], -v[18:19], v[26:27], 1.0
	v_fma_f64 v[32:33], -v[20:21], v[28:29], 1.0
	s_delay_alu instid0(VALU_DEP_2) | instskip(NEXT) | instid1(VALU_DEP_2)
	v_fmac_f64_e32 v[26:27], v[26:27], v[30:31]
	v_fmac_f64_e32 v[28:29], v[28:29], v[32:33]
	s_delay_alu instid0(VALU_DEP_2) | instskip(NEXT) | instid1(VALU_DEP_2)
	v_fma_f64 v[30:31], -v[18:19], v[26:27], 1.0
	v_fma_f64 v[32:33], -v[20:21], v[28:29], 1.0
	s_delay_alu instid0(VALU_DEP_2) | instskip(SKIP_1) | instid1(VALU_DEP_3)
	v_fmac_f64_e32 v[26:27], v[26:27], v[30:31]
	v_div_scale_f64 v[30:31], s0, v[22:23], v[16:17], v[22:23]
	v_fmac_f64_e32 v[28:29], v[28:29], v[32:33]
	s_delay_alu instid0(VALU_DEP_3) | instskip(NEXT) | instid1(VALU_DEP_2)
	v_mul_f64_e32 v[32:33], v[34:35], v[26:27]
	v_mul_f64_e32 v[36:37], v[30:31], v[28:29]
	s_delay_alu instid0(VALU_DEP_2) | instskip(NEXT) | instid1(VALU_DEP_2)
	v_fma_f64 v[18:19], -v[18:19], v[32:33], v[34:35]
	v_fma_f64 v[20:21], -v[20:21], v[36:37], v[30:31]
	s_delay_alu instid0(VALU_DEP_2) | instskip(SKIP_2) | instid1(VALU_DEP_2)
	v_div_fmas_f64 v[18:19], v[18:19], v[26:27], v[32:33]
	s_mov_b32 vcc_lo, s0
	s_mov_b32 s0, exec_lo
	v_div_fmas_f64 v[26:27], v[20:21], v[28:29], v[36:37]
	s_delay_alu instid0(VALU_DEP_2)
	v_div_fixup_f64 v[2:3], v[18:19], v[12:13], v[2:3]
	ds_load_2addr_stride64_b64 v[18:21], v9 offset0:8 offset1:16
	v_div_fixup_f64 v[12:13], v[26:27], v[16:17], v[22:23]
	s_wait_dscnt 0x0
	v_fma_f64 v[22:23], -v[2:3], v[18:19], v[24:25]
	v_fma_f64 v[6:7], -v[2:3], v[20:21], v[6:7]
	ds_load_2addr_stride64_b64 v[16:19], v38 offset0:8 offset1:16
	v_mul_f64_e64 v[2:3], v[2:3], -v[10:11]
	s_wait_dscnt 0x0
	s_barrier_signal -1
	s_barrier_wait -1
	v_mul_f64_e64 v[10:11], v[12:13], -v[16:17]
	v_fma_f64 v[14:15], -v[12:13], v[14:15], v[22:23]
	v_fma_f64 v[6:7], -v[12:13], v[18:19], v[6:7]
	ds_store_b64 v4, v[14:15]
	ds_store_b64 v8, v[6:7] offset:8192
	ds_store_b64 v8, v[2:3]
	ds_store_b64 v5, v[10:11]
	s_wait_dscnt 0x0
	s_barrier_signal -1
	s_barrier_wait -1
	v_cmpx_gt_u32_e32 0x80, v0
	s_cbranch_execz .LBB36_14
; %bb.9:
	v_or_b32_e32 v6, 0x80, v0
	v_or_b32_e32 v7, 0x2000, v8
	s_mov_b32 s1, exec_lo
                                        ; implicit-def: $vgpr2_vgpr3
	s_delay_alu instid0(VALU_DEP_2)
	v_cmpx_le_i32_e64 s3, v6
	s_xor_b32 s1, exec_lo, s1
	s_cbranch_execz .LBB36_11
; %bb.10:
	ds_load_b64 v[2:3], v7
	ds_load_b64 v[4:5], v4
	s_wait_dscnt 0x0
	v_div_scale_f64 v[6:7], null, v[4:5], v[4:5], v[2:3]
	s_delay_alu instid0(VALU_DEP_1) | instskip(SKIP_1) | instid1(TRANS32_DEP_1)
	v_rcp_f64_e32 v[10:11], v[6:7]
	v_nop
	v_fma_f64 v[12:13], -v[6:7], v[10:11], 1.0
	s_delay_alu instid0(VALU_DEP_1) | instskip(NEXT) | instid1(VALU_DEP_1)
	v_fmac_f64_e32 v[10:11], v[10:11], v[12:13]
	v_fma_f64 v[12:13], -v[6:7], v[10:11], 1.0
	s_delay_alu instid0(VALU_DEP_1) | instskip(SKIP_1) | instid1(VALU_DEP_1)
	v_fmac_f64_e32 v[10:11], v[10:11], v[12:13]
	v_div_scale_f64 v[12:13], vcc_lo, v[2:3], v[4:5], v[2:3]
	v_mul_f64_e32 v[14:15], v[12:13], v[10:11]
	s_delay_alu instid0(VALU_DEP_1) | instskip(NEXT) | instid1(VALU_DEP_1)
	v_fma_f64 v[6:7], -v[6:7], v[14:15], v[12:13]
	v_div_fmas_f64 v[6:7], v[6:7], v[10:11], v[14:15]
	s_delay_alu instid0(VALU_DEP_1)
	v_div_fixup_f64 v[2:3], v[6:7], v[4:5], v[2:3]
                                        ; implicit-def: $vgpr4
                                        ; implicit-def: $vgpr5
                                        ; implicit-def: $vgpr7
                                        ; implicit-def: $vgpr6
.LBB36_11:
	s_and_not1_saveexec_b32 s1, s1
	s_cbranch_execz .LBB36_13
; %bb.12:
	ds_load_b64 v[14:15], v5
	ds_load_b64 v[16:17], v8 offset:1024
	ds_load_2addr_stride64_b64 v[2:5], v4 offset1:2
	v_mov_b32_e32 v0, v6
	s_wait_dscnt 0x1
	v_mul_f64_e32 v[10:11], v[14:15], v[16:17]
	s_wait_dscnt 0x0
	s_delay_alu instid0(VALU_DEP_1) | instskip(NEXT) | instid1(VALU_DEP_1)
	v_fma_f64 v[18:19], v[4:5], v[2:3], -v[10:11]
	v_div_scale_f64 v[10:11], null, v[18:19], v[18:19], 1.0
	v_div_scale_f64 v[22:23], vcc_lo, 1.0, v[18:19], 1.0
	s_delay_alu instid0(VALU_DEP_2) | instskip(SKIP_1) | instid1(TRANS32_DEP_1)
	v_rcp_f64_e32 v[20:21], v[10:11]
	v_nop
	v_fma_f64 v[12:13], -v[10:11], v[20:21], 1.0
	s_delay_alu instid0(VALU_DEP_1) | instskip(NEXT) | instid1(VALU_DEP_1)
	v_fmac_f64_e32 v[20:21], v[20:21], v[12:13]
	v_fma_f64 v[12:13], -v[10:11], v[20:21], 1.0
	s_delay_alu instid0(VALU_DEP_1) | instskip(NEXT) | instid1(VALU_DEP_1)
	v_fmac_f64_e32 v[20:21], v[20:21], v[12:13]
	v_mul_f64_e32 v[24:25], v[22:23], v[20:21]
	s_delay_alu instid0(VALU_DEP_1)
	v_fma_f64 v[22:23], -v[10:11], v[24:25], v[22:23]
	ds_load_2addr_stride64_b64 v[10:13], v7 offset1:2
	s_wait_dscnt 0x0
	v_mul_f64_e32 v[14:15], v[14:15], v[12:13]
	v_mul_f64_e32 v[16:17], v[16:17], v[10:11]
	v_div_fmas_f64 v[20:21], v[22:23], v[20:21], v[24:25]
	s_delay_alu instid0(VALU_DEP_3) | instskip(NEXT) | instid1(VALU_DEP_3)
	v_fma_f64 v[4:5], v[4:5], v[10:11], -v[14:15]
	v_fma_f64 v[2:3], v[2:3], v[12:13], -v[16:17]
	s_delay_alu instid0(VALU_DEP_3) | instskip(NEXT) | instid1(VALU_DEP_1)
	v_div_fixup_f64 v[18:19], v[20:21], v[18:19], 1.0
	v_mul_f64_e32 v[4:5], v[18:19], v[4:5]
	s_delay_alu instid0(VALU_DEP_3)
	v_mul_f64_e32 v[2:3], v[18:19], v[2:3]
	ds_store_b64 v8, v[4:5] offset:6144
.LBB36_13:
	s_or_b32 exec_lo, exec_lo, s1
	v_lshlrev_b32_e32 v0, 3, v0
	ds_store_b64 v0, v[2:3] offset:6144
.LBB36_14:
	s_or_b32 exec_lo, exec_lo, s0
	s_wait_dscnt 0x0
	s_barrier_signal -1
	s_barrier_wait -1
	s_and_saveexec_b32 s0, s2
	s_cbranch_execz .LBB36_16
; %bb.15:
	ds_load_b64 v[2:3], v8 offset:6144
	s_wait_dscnt 0x0
	s_wait_kmcnt 0x0
	global_store_b64 v1, v[2:3], s[4:5] scale_offset
.LBB36_16:
	s_endpgm
	.section	.rodata,"a",@progbits
	.p2align	6, 0x0
	.amdhsa_kernel _ZN9rocsparseL44gtsv_nopivot_strided_batch_pcr_shared_kernelILj256EdEEviiiPKT0_S3_S3_PS1_
		.amdhsa_group_segment_fixed_size 10240
		.amdhsa_private_segment_fixed_size 0
		.amdhsa_kernarg_size 48
		.amdhsa_user_sgpr_count 2
		.amdhsa_user_sgpr_dispatch_ptr 0
		.amdhsa_user_sgpr_queue_ptr 0
		.amdhsa_user_sgpr_kernarg_segment_ptr 1
		.amdhsa_user_sgpr_dispatch_id 0
		.amdhsa_user_sgpr_kernarg_preload_length 0
		.amdhsa_user_sgpr_kernarg_preload_offset 0
		.amdhsa_user_sgpr_private_segment_size 0
		.amdhsa_wavefront_size32 1
		.amdhsa_uses_dynamic_stack 0
		.amdhsa_enable_private_segment 0
		.amdhsa_system_sgpr_workgroup_id_x 1
		.amdhsa_system_sgpr_workgroup_id_y 0
		.amdhsa_system_sgpr_workgroup_id_z 0
		.amdhsa_system_sgpr_workgroup_info 0
		.amdhsa_system_vgpr_workitem_id 0
		.amdhsa_next_free_vgpr 39
		.amdhsa_next_free_sgpr 8
		.amdhsa_named_barrier_count 0
		.amdhsa_reserve_vcc 1
		.amdhsa_float_round_mode_32 0
		.amdhsa_float_round_mode_16_64 0
		.amdhsa_float_denorm_mode_32 3
		.amdhsa_float_denorm_mode_16_64 3
		.amdhsa_fp16_overflow 0
		.amdhsa_memory_ordered 1
		.amdhsa_forward_progress 1
		.amdhsa_inst_pref_size 28
		.amdhsa_round_robin_scheduling 0
		.amdhsa_exception_fp_ieee_invalid_op 0
		.amdhsa_exception_fp_denorm_src 0
		.amdhsa_exception_fp_ieee_div_zero 0
		.amdhsa_exception_fp_ieee_overflow 0
		.amdhsa_exception_fp_ieee_underflow 0
		.amdhsa_exception_fp_ieee_inexact 0
		.amdhsa_exception_int_div_zero 0
	.end_amdhsa_kernel
	.section	.text._ZN9rocsparseL44gtsv_nopivot_strided_batch_pcr_shared_kernelILj256EdEEviiiPKT0_S3_S3_PS1_,"axG",@progbits,_ZN9rocsparseL44gtsv_nopivot_strided_batch_pcr_shared_kernelILj256EdEEviiiPKT0_S3_S3_PS1_,comdat
.Lfunc_end36:
	.size	_ZN9rocsparseL44gtsv_nopivot_strided_batch_pcr_shared_kernelILj256EdEEviiiPKT0_S3_S3_PS1_, .Lfunc_end36-_ZN9rocsparseL44gtsv_nopivot_strided_batch_pcr_shared_kernelILj256EdEEviiiPKT0_S3_S3_PS1_
                                        ; -- End function
	.set _ZN9rocsparseL44gtsv_nopivot_strided_batch_pcr_shared_kernelILj256EdEEviiiPKT0_S3_S3_PS1_.num_vgpr, 39
	.set _ZN9rocsparseL44gtsv_nopivot_strided_batch_pcr_shared_kernelILj256EdEEviiiPKT0_S3_S3_PS1_.num_agpr, 0
	.set _ZN9rocsparseL44gtsv_nopivot_strided_batch_pcr_shared_kernelILj256EdEEviiiPKT0_S3_S3_PS1_.numbered_sgpr, 8
	.set _ZN9rocsparseL44gtsv_nopivot_strided_batch_pcr_shared_kernelILj256EdEEviiiPKT0_S3_S3_PS1_.num_named_barrier, 0
	.set _ZN9rocsparseL44gtsv_nopivot_strided_batch_pcr_shared_kernelILj256EdEEviiiPKT0_S3_S3_PS1_.private_seg_size, 0
	.set _ZN9rocsparseL44gtsv_nopivot_strided_batch_pcr_shared_kernelILj256EdEEviiiPKT0_S3_S3_PS1_.uses_vcc, 1
	.set _ZN9rocsparseL44gtsv_nopivot_strided_batch_pcr_shared_kernelILj256EdEEviiiPKT0_S3_S3_PS1_.uses_flat_scratch, 0
	.set _ZN9rocsparseL44gtsv_nopivot_strided_batch_pcr_shared_kernelILj256EdEEviiiPKT0_S3_S3_PS1_.has_dyn_sized_stack, 0
	.set _ZN9rocsparseL44gtsv_nopivot_strided_batch_pcr_shared_kernelILj256EdEEviiiPKT0_S3_S3_PS1_.has_recursion, 0
	.set _ZN9rocsparseL44gtsv_nopivot_strided_batch_pcr_shared_kernelILj256EdEEviiiPKT0_S3_S3_PS1_.has_indirect_call, 0
	.section	.AMDGPU.csdata,"",@progbits
; Kernel info:
; codeLenInByte = 3516
; TotalNumSgprs: 10
; NumVgprs: 39
; ScratchSize: 0
; MemoryBound: 0
; FloatMode: 240
; IeeeMode: 1
; LDSByteSize: 10240 bytes/workgroup (compile time only)
; SGPRBlocks: 0
; VGPRBlocks: 2
; NumSGPRsForWavesPerEU: 10
; NumVGPRsForWavesPerEU: 39
; NamedBarCnt: 0
; Occupancy: 16
; WaveLimiterHint : 0
; COMPUTE_PGM_RSRC2:SCRATCH_EN: 0
; COMPUTE_PGM_RSRC2:USER_SGPR: 2
; COMPUTE_PGM_RSRC2:TRAP_HANDLER: 0
; COMPUTE_PGM_RSRC2:TGID_X_EN: 1
; COMPUTE_PGM_RSRC2:TGID_Y_EN: 0
; COMPUTE_PGM_RSRC2:TGID_Z_EN: 0
; COMPUTE_PGM_RSRC2:TIDIG_COMP_CNT: 0
	.section	.text._ZN9rocsparseL44gtsv_nopivot_strided_batch_pcr_shared_kernelILj512EdEEviiiPKT0_S3_S3_PS1_,"axG",@progbits,_ZN9rocsparseL44gtsv_nopivot_strided_batch_pcr_shared_kernelILj512EdEEviiiPKT0_S3_S3_PS1_,comdat
	.globl	_ZN9rocsparseL44gtsv_nopivot_strided_batch_pcr_shared_kernelILj512EdEEviiiPKT0_S3_S3_PS1_ ; -- Begin function _ZN9rocsparseL44gtsv_nopivot_strided_batch_pcr_shared_kernelILj512EdEEviiiPKT0_S3_S3_PS1_
	.p2align	8
	.type	_ZN9rocsparseL44gtsv_nopivot_strided_batch_pcr_shared_kernelILj512EdEEviiiPKT0_S3_S3_PS1_,@function
_ZN9rocsparseL44gtsv_nopivot_strided_batch_pcr_shared_kernelILj512EdEEviiiPKT0_S3_S3_PS1_: ; @_ZN9rocsparseL44gtsv_nopivot_strided_batch_pcr_shared_kernelILj512EdEEviiiPKT0_S3_S3_PS1_
; %bb.0:
	s_clause 0x1
	s_load_b32 s2, s[0:1], 0x8
	s_load_b32 s3, s[0:1], 0x0
	s_bfe_u32 s4, ttmp6, 0x4000c
	s_and_b32 s5, ttmp6, 15
	s_add_co_i32 s4, s4, 1
	s_getreg_b32 s6, hwreg(HW_REG_IB_STS2, 6, 4)
	s_mul_i32 s4, ttmp9, s4
	v_mov_b64_e32 v[4:5], 0
	s_add_co_i32 s5, s5, s4
	s_cmp_eq_u32 s6, 0
	v_mov_b64_e32 v[2:3], 0
	s_cselect_b32 s4, ttmp9, s5
	s_wait_kmcnt 0x0
	v_mad_u32 v1, s2, s4, v0
	v_cmp_gt_i32_e64 s2, s3, v0
	s_and_saveexec_b32 s4, s2
	s_cbranch_execz .LBB37_2
; %bb.1:
	s_load_b64 s[6:7], s[0:1], 0x10
	s_wait_kmcnt 0x0
	global_load_b64 v[2:3], v1, s[6:7] scale_offset
.LBB37_2:
	s_wait_xcnt 0x0
	s_or_b32 exec_lo, exec_lo, s4
	v_lshlrev_b32_e32 v8, 3, v0
	s_wait_loadcnt 0x0
	ds_store_b64 v8, v[2:3]
	s_and_saveexec_b32 s4, s2
	s_cbranch_execz .LBB37_4
; %bb.3:
	s_load_b64 s[6:7], s[0:1], 0x18
	s_wait_kmcnt 0x0
	global_load_b64 v[4:5], v1, s[6:7] scale_offset
.LBB37_4:
	s_wait_xcnt 0x0
	s_or_b32 exec_lo, exec_lo, s4
	s_load_b64 s[4:5], s[0:1], 0x28
	v_mov_b64_e32 v[2:3], 0
	v_mov_b64_e32 v[6:7], 0
	s_wait_loadcnt 0x0
	ds_store_b64 v8, v[4:5] offset:4096
	s_and_saveexec_b32 s6, s2
	s_cbranch_execz .LBB37_6
; %bb.5:
	s_wait_xcnt 0x0
	s_load_b64 s[0:1], s[0:1], 0x20
	s_wait_kmcnt 0x0
	global_load_b64 v[6:7], v1, s[0:1] scale_offset
.LBB37_6:
	s_wait_xcnt 0x0
	s_or_b32 exec_lo, exec_lo, s6
	v_or_b32_e32 v4, 0x1000, v8
	v_or_b32_e32 v5, 0x2000, v8
	s_wait_loadcnt 0x0
	ds_store_b64 v8, v[6:7] offset:8192
	s_and_saveexec_b32 s0, s2
	s_cbranch_execz .LBB37_8
; %bb.7:
	s_wait_kmcnt 0x0
	global_load_b64 v[2:3], v1, s[4:5] scale_offset
.LBB37_8:
	s_wait_xcnt 0x0
	s_or_b32 exec_lo, exec_lo, s0
	v_sub_nc_u32_e64 v6, v0, 1 clamp
	s_wait_loadcnt 0x0
	ds_store_b64 v8, v[2:3] offset:16384
	s_wait_dscnt 0x0
	s_barrier_signal -1
	s_barrier_wait -1
	v_lshlrev_b32_e32 v9, 3, v6
	s_add_co_i32 s1, s3, -1
	ds_load_b64 v[2:3], v8
	ds_load_2addr_stride64_b64 v[10:13], v9 offset1:8
	v_add_min_i32_e64 v14, v0, 1, s1
	ds_load_b64 v[6:7], v8 offset:16384
	s_wait_dscnt 0x1
	v_div_scale_f64 v[18:19], null, v[12:13], v[12:13], v[2:3]
	v_div_scale_f64 v[34:35], vcc_lo, v[2:3], v[12:13], v[2:3]
	v_lshlrev_b32_e32 v38, 3, v14
	ds_load_2addr_stride64_b64 v[14:17], v38 offset1:8
	ds_load_b64 v[22:23], v5
	ds_load_b64 v[24:25], v4
	s_wait_dscnt 0x1
	v_div_scale_f64 v[20:21], null, v[16:17], v[16:17], v[22:23]
	v_rcp_f64_e32 v[26:27], v[18:19]
	s_delay_alu instid0(VALU_DEP_1) | instskip(NEXT) | instid1(TRANS32_DEP_2)
	v_rcp_f64_e32 v[28:29], v[20:21]
	v_fma_f64 v[30:31], -v[18:19], v[26:27], 1.0
	s_delay_alu instid0(TRANS32_DEP_1) | instskip(NEXT) | instid1(VALU_DEP_2)
	v_fma_f64 v[32:33], -v[20:21], v[28:29], 1.0
	v_fmac_f64_e32 v[26:27], v[26:27], v[30:31]
	s_delay_alu instid0(VALU_DEP_2) | instskip(NEXT) | instid1(VALU_DEP_2)
	v_fmac_f64_e32 v[28:29], v[28:29], v[32:33]
	v_fma_f64 v[30:31], -v[18:19], v[26:27], 1.0
	s_delay_alu instid0(VALU_DEP_2) | instskip(NEXT) | instid1(VALU_DEP_2)
	v_fma_f64 v[32:33], -v[20:21], v[28:29], 1.0
	v_fmac_f64_e32 v[26:27], v[26:27], v[30:31]
	v_div_scale_f64 v[30:31], s0, v[22:23], v[16:17], v[22:23]
	s_delay_alu instid0(VALU_DEP_3) | instskip(NEXT) | instid1(VALU_DEP_3)
	v_fmac_f64_e32 v[28:29], v[28:29], v[32:33]
	v_mul_f64_e32 v[32:33], v[34:35], v[26:27]
	s_delay_alu instid0(VALU_DEP_2) | instskip(NEXT) | instid1(VALU_DEP_2)
	v_mul_f64_e32 v[36:37], v[30:31], v[28:29]
	v_fma_f64 v[18:19], -v[18:19], v[32:33], v[34:35]
	s_delay_alu instid0(VALU_DEP_2) | instskip(NEXT) | instid1(VALU_DEP_2)
	v_fma_f64 v[20:21], -v[20:21], v[36:37], v[30:31]
	v_div_fmas_f64 v[18:19], v[18:19], v[26:27], v[32:33]
	s_mov_b32 vcc_lo, s0
	s_delay_alu instid0(VALU_DEP_2) | instskip(NEXT) | instid1(VALU_DEP_2)
	v_div_fmas_f64 v[26:27], v[20:21], v[28:29], v[36:37]
	v_div_fixup_f64 v[2:3], v[18:19], v[12:13], v[2:3]
	ds_load_2addr_stride64_b64 v[18:21], v9 offset0:16 offset1:32
	v_sub_nc_u32_e64 v9, v0, 2 clamp
	s_delay_alu instid0(VALU_DEP_1)
	v_lshlrev_b32_e32 v9, 3, v9
	v_div_fixup_f64 v[12:13], v[26:27], v[16:17], v[22:23]
	s_wait_dscnt 0x0
	v_fma_f64 v[22:23], -v[2:3], v[18:19], v[24:25]
	v_fma_f64 v[6:7], -v[2:3], v[20:21], v[6:7]
	ds_load_2addr_stride64_b64 v[16:19], v38 offset0:16 offset1:32
	v_mul_f64_e64 v[2:3], v[2:3], -v[10:11]
	s_wait_dscnt 0x0
	s_barrier_signal -1
	s_barrier_wait -1
	v_mul_f64_e64 v[10:11], v[12:13], -v[16:17]
	v_fma_f64 v[14:15], -v[12:13], v[14:15], v[22:23]
	v_fma_f64 v[6:7], -v[12:13], v[18:19], v[6:7]
	ds_store_b64 v4, v[14:15]
	ds_store_b64 v8, v[6:7] offset:16384
	ds_store_b64 v8, v[2:3]
	ds_store_b64 v5, v[10:11]
	s_wait_dscnt 0x0
	s_barrier_signal -1
	s_barrier_wait -1
	ds_load_b64 v[2:3], v8
	ds_load_2addr_stride64_b64 v[10:13], v9 offset1:8
	v_add_min_i32_e64 v14, v0, 2, s1
	ds_load_b64 v[6:7], v8 offset:16384
	v_lshlrev_b32_e32 v38, 3, v14
	ds_load_2addr_stride64_b64 v[14:17], v38 offset1:8
	ds_load_b64 v[22:23], v5
	ds_load_b64 v[24:25], v4
	s_wait_dscnt 0x4
	v_div_scale_f64 v[18:19], null, v[12:13], v[12:13], v[2:3]
	v_div_scale_f64 v[34:35], vcc_lo, v[2:3], v[12:13], v[2:3]
	s_wait_dscnt 0x1
	v_div_scale_f64 v[20:21], null, v[16:17], v[16:17], v[22:23]
	s_delay_alu instid0(VALU_DEP_3) | instskip(NEXT) | instid1(VALU_DEP_1)
	v_rcp_f64_e32 v[26:27], v[18:19]
	v_rcp_f64_e32 v[28:29], v[20:21]
	s_delay_alu instid0(TRANS32_DEP_2) | instskip(NEXT) | instid1(TRANS32_DEP_1)
	v_fma_f64 v[30:31], -v[18:19], v[26:27], 1.0
	v_fma_f64 v[32:33], -v[20:21], v[28:29], 1.0
	s_delay_alu instid0(VALU_DEP_2) | instskip(NEXT) | instid1(VALU_DEP_2)
	v_fmac_f64_e32 v[26:27], v[26:27], v[30:31]
	v_fmac_f64_e32 v[28:29], v[28:29], v[32:33]
	s_delay_alu instid0(VALU_DEP_2) | instskip(NEXT) | instid1(VALU_DEP_2)
	v_fma_f64 v[30:31], -v[18:19], v[26:27], 1.0
	v_fma_f64 v[32:33], -v[20:21], v[28:29], 1.0
	s_delay_alu instid0(VALU_DEP_2) | instskip(SKIP_1) | instid1(VALU_DEP_3)
	v_fmac_f64_e32 v[26:27], v[26:27], v[30:31]
	v_div_scale_f64 v[30:31], s0, v[22:23], v[16:17], v[22:23]
	v_fmac_f64_e32 v[28:29], v[28:29], v[32:33]
	s_delay_alu instid0(VALU_DEP_3) | instskip(NEXT) | instid1(VALU_DEP_2)
	v_mul_f64_e32 v[32:33], v[34:35], v[26:27]
	v_mul_f64_e32 v[36:37], v[30:31], v[28:29]
	s_delay_alu instid0(VALU_DEP_2) | instskip(NEXT) | instid1(VALU_DEP_2)
	v_fma_f64 v[18:19], -v[18:19], v[32:33], v[34:35]
	v_fma_f64 v[20:21], -v[20:21], v[36:37], v[30:31]
	s_delay_alu instid0(VALU_DEP_2) | instskip(SKIP_1) | instid1(VALU_DEP_2)
	v_div_fmas_f64 v[18:19], v[18:19], v[26:27], v[32:33]
	s_mov_b32 vcc_lo, s0
	v_div_fmas_f64 v[26:27], v[20:21], v[28:29], v[36:37]
	s_delay_alu instid0(VALU_DEP_2) | instskip(SKIP_2) | instid1(VALU_DEP_1)
	v_div_fixup_f64 v[2:3], v[18:19], v[12:13], v[2:3]
	ds_load_2addr_stride64_b64 v[18:21], v9 offset0:16 offset1:32
	v_sub_nc_u32_e64 v9, v0, 4 clamp
	v_lshlrev_b32_e32 v9, 3, v9
	v_div_fixup_f64 v[12:13], v[26:27], v[16:17], v[22:23]
	s_wait_dscnt 0x0
	v_fma_f64 v[22:23], -v[2:3], v[18:19], v[24:25]
	v_fma_f64 v[6:7], -v[2:3], v[20:21], v[6:7]
	ds_load_2addr_stride64_b64 v[16:19], v38 offset0:16 offset1:32
	v_mul_f64_e64 v[2:3], v[2:3], -v[10:11]
	s_wait_dscnt 0x0
	s_barrier_signal -1
	s_barrier_wait -1
	v_mul_f64_e64 v[10:11], v[12:13], -v[16:17]
	v_fma_f64 v[14:15], -v[12:13], v[14:15], v[22:23]
	v_fma_f64 v[6:7], -v[12:13], v[18:19], v[6:7]
	ds_store_b64 v4, v[14:15]
	ds_store_b64 v8, v[6:7] offset:16384
	ds_store_b64 v8, v[2:3]
	ds_store_b64 v5, v[10:11]
	s_wait_dscnt 0x0
	s_barrier_signal -1
	s_barrier_wait -1
	ds_load_b64 v[2:3], v8
	ds_load_2addr_stride64_b64 v[10:13], v9 offset1:8
	v_add_min_i32_e64 v14, v0, 4, s1
	ds_load_b64 v[6:7], v8 offset:16384
	v_lshlrev_b32_e32 v38, 3, v14
	ds_load_2addr_stride64_b64 v[14:17], v38 offset1:8
	ds_load_b64 v[22:23], v5
	ds_load_b64 v[24:25], v4
	s_wait_dscnt 0x4
	v_div_scale_f64 v[18:19], null, v[12:13], v[12:13], v[2:3]
	v_div_scale_f64 v[34:35], vcc_lo, v[2:3], v[12:13], v[2:3]
	s_wait_dscnt 0x1
	v_div_scale_f64 v[20:21], null, v[16:17], v[16:17], v[22:23]
	s_delay_alu instid0(VALU_DEP_3) | instskip(NEXT) | instid1(VALU_DEP_1)
	v_rcp_f64_e32 v[26:27], v[18:19]
	v_rcp_f64_e32 v[28:29], v[20:21]
	s_delay_alu instid0(TRANS32_DEP_2) | instskip(NEXT) | instid1(TRANS32_DEP_1)
	v_fma_f64 v[30:31], -v[18:19], v[26:27], 1.0
	v_fma_f64 v[32:33], -v[20:21], v[28:29], 1.0
	s_delay_alu instid0(VALU_DEP_2) | instskip(NEXT) | instid1(VALU_DEP_2)
	v_fmac_f64_e32 v[26:27], v[26:27], v[30:31]
	v_fmac_f64_e32 v[28:29], v[28:29], v[32:33]
	s_delay_alu instid0(VALU_DEP_2) | instskip(NEXT) | instid1(VALU_DEP_2)
	v_fma_f64 v[30:31], -v[18:19], v[26:27], 1.0
	v_fma_f64 v[32:33], -v[20:21], v[28:29], 1.0
	s_delay_alu instid0(VALU_DEP_2) | instskip(SKIP_1) | instid1(VALU_DEP_3)
	v_fmac_f64_e32 v[26:27], v[26:27], v[30:31]
	v_div_scale_f64 v[30:31], s0, v[22:23], v[16:17], v[22:23]
	v_fmac_f64_e32 v[28:29], v[28:29], v[32:33]
	s_delay_alu instid0(VALU_DEP_3) | instskip(NEXT) | instid1(VALU_DEP_2)
	v_mul_f64_e32 v[32:33], v[34:35], v[26:27]
	v_mul_f64_e32 v[36:37], v[30:31], v[28:29]
	s_delay_alu instid0(VALU_DEP_2) | instskip(NEXT) | instid1(VALU_DEP_2)
	v_fma_f64 v[18:19], -v[18:19], v[32:33], v[34:35]
	v_fma_f64 v[20:21], -v[20:21], v[36:37], v[30:31]
	s_delay_alu instid0(VALU_DEP_2) | instskip(SKIP_1) | instid1(VALU_DEP_2)
	v_div_fmas_f64 v[18:19], v[18:19], v[26:27], v[32:33]
	s_mov_b32 vcc_lo, s0
	v_div_fmas_f64 v[26:27], v[20:21], v[28:29], v[36:37]
	s_delay_alu instid0(VALU_DEP_2) | instskip(SKIP_2) | instid1(VALU_DEP_1)
	v_div_fixup_f64 v[2:3], v[18:19], v[12:13], v[2:3]
	ds_load_2addr_stride64_b64 v[18:21], v9 offset0:16 offset1:32
	v_sub_nc_u32_e64 v9, v0, 8 clamp
	;; [unrolled: 63-line block ×5, first 2 shown]
	v_lshlrev_b32_e32 v9, 3, v9
	v_div_fixup_f64 v[12:13], v[26:27], v[16:17], v[22:23]
	s_wait_dscnt 0x0
	v_fma_f64 v[22:23], -v[2:3], v[18:19], v[24:25]
	v_fma_f64 v[6:7], -v[2:3], v[20:21], v[6:7]
	ds_load_2addr_stride64_b64 v[16:19], v38 offset0:16 offset1:32
	v_mul_f64_e64 v[2:3], v[2:3], -v[10:11]
	s_wait_dscnt 0x0
	s_barrier_signal -1
	s_barrier_wait -1
	v_mul_f64_e64 v[10:11], v[12:13], -v[16:17]
	v_fma_f64 v[14:15], -v[12:13], v[14:15], v[22:23]
	v_fma_f64 v[6:7], -v[12:13], v[18:19], v[6:7]
	ds_store_b64 v4, v[14:15]
	ds_store_b64 v8, v[6:7] offset:16384
	ds_store_b64 v8, v[2:3]
	ds_store_b64 v5, v[10:11]
	s_wait_dscnt 0x0
	s_barrier_signal -1
	s_barrier_wait -1
	ds_load_b64 v[2:3], v8
	ds_load_2addr_stride64_b64 v[10:13], v9 offset1:8
	v_add_min_i32_e64 v14, v0, 64, s1
	ds_load_b64 v[6:7], v8 offset:16384
	v_lshlrev_b32_e32 v38, 3, v14
	ds_load_2addr_stride64_b64 v[14:17], v38 offset1:8
	ds_load_b64 v[22:23], v5
	ds_load_b64 v[24:25], v4
	s_wait_dscnt 0x4
	v_div_scale_f64 v[18:19], null, v[12:13], v[12:13], v[2:3]
	v_div_scale_f64 v[34:35], vcc_lo, v[2:3], v[12:13], v[2:3]
	s_wait_dscnt 0x1
	v_div_scale_f64 v[20:21], null, v[16:17], v[16:17], v[22:23]
	s_delay_alu instid0(VALU_DEP_3) | instskip(NEXT) | instid1(VALU_DEP_1)
	v_rcp_f64_e32 v[26:27], v[18:19]
	v_rcp_f64_e32 v[28:29], v[20:21]
	s_delay_alu instid0(TRANS32_DEP_2) | instskip(NEXT) | instid1(TRANS32_DEP_1)
	v_fma_f64 v[30:31], -v[18:19], v[26:27], 1.0
	v_fma_f64 v[32:33], -v[20:21], v[28:29], 1.0
	s_delay_alu instid0(VALU_DEP_2) | instskip(NEXT) | instid1(VALU_DEP_2)
	v_fmac_f64_e32 v[26:27], v[26:27], v[30:31]
	v_fmac_f64_e32 v[28:29], v[28:29], v[32:33]
	s_delay_alu instid0(VALU_DEP_2) | instskip(NEXT) | instid1(VALU_DEP_2)
	v_fma_f64 v[30:31], -v[18:19], v[26:27], 1.0
	v_fma_f64 v[32:33], -v[20:21], v[28:29], 1.0
	s_delay_alu instid0(VALU_DEP_2) | instskip(SKIP_1) | instid1(VALU_DEP_3)
	v_fmac_f64_e32 v[26:27], v[26:27], v[30:31]
	v_div_scale_f64 v[30:31], s0, v[22:23], v[16:17], v[22:23]
	v_fmac_f64_e32 v[28:29], v[28:29], v[32:33]
	s_delay_alu instid0(VALU_DEP_3) | instskip(NEXT) | instid1(VALU_DEP_2)
	v_mul_f64_e32 v[32:33], v[34:35], v[26:27]
	v_mul_f64_e32 v[36:37], v[30:31], v[28:29]
	s_delay_alu instid0(VALU_DEP_2) | instskip(NEXT) | instid1(VALU_DEP_2)
	v_fma_f64 v[18:19], -v[18:19], v[32:33], v[34:35]
	v_fma_f64 v[20:21], -v[20:21], v[36:37], v[30:31]
	s_delay_alu instid0(VALU_DEP_2) | instskip(SKIP_1) | instid1(VALU_DEP_2)
	v_div_fmas_f64 v[18:19], v[18:19], v[26:27], v[32:33]
	s_mov_b32 vcc_lo, s0
	v_div_fmas_f64 v[26:27], v[20:21], v[28:29], v[36:37]
	s_delay_alu instid0(VALU_DEP_2) | instskip(SKIP_2) | instid1(VALU_DEP_1)
	v_div_fixup_f64 v[2:3], v[18:19], v[12:13], v[2:3]
	ds_load_2addr_stride64_b64 v[18:21], v9 offset0:16 offset1:32
	v_subrev_nc_u32_e64 v9, 0x80, v0 clamp
	v_lshlrev_b32_e32 v9, 3, v9
	v_div_fixup_f64 v[12:13], v[26:27], v[16:17], v[22:23]
	s_wait_dscnt 0x0
	v_fma_f64 v[22:23], -v[2:3], v[18:19], v[24:25]
	v_fma_f64 v[6:7], -v[2:3], v[20:21], v[6:7]
	ds_load_2addr_stride64_b64 v[16:19], v38 offset0:16 offset1:32
	v_mul_f64_e64 v[2:3], v[2:3], -v[10:11]
	s_wait_dscnt 0x0
	s_barrier_signal -1
	s_barrier_wait -1
	v_mul_f64_e64 v[10:11], v[12:13], -v[16:17]
	v_fma_f64 v[14:15], -v[12:13], v[14:15], v[22:23]
	v_fma_f64 v[6:7], -v[12:13], v[18:19], v[6:7]
	ds_store_b64 v4, v[14:15]
	ds_store_b64 v8, v[6:7] offset:16384
	ds_store_b64 v8, v[2:3]
	ds_store_b64 v5, v[10:11]
	s_wait_dscnt 0x0
	s_barrier_signal -1
	s_barrier_wait -1
	ds_load_b64 v[2:3], v8
	ds_load_2addr_stride64_b64 v[10:13], v9 offset1:8
	v_add_min_i32_e64 v14, 0x80, v0, s1
	ds_load_b64 v[6:7], v8 offset:16384
	v_lshlrev_b32_e32 v38, 3, v14
	ds_load_2addr_stride64_b64 v[14:17], v38 offset1:8
	ds_load_b64 v[22:23], v5
	ds_load_b64 v[24:25], v4
	s_wait_dscnt 0x4
	v_div_scale_f64 v[18:19], null, v[12:13], v[12:13], v[2:3]
	v_div_scale_f64 v[34:35], vcc_lo, v[2:3], v[12:13], v[2:3]
	s_wait_dscnt 0x1
	v_div_scale_f64 v[20:21], null, v[16:17], v[16:17], v[22:23]
	s_delay_alu instid0(VALU_DEP_3) | instskip(NEXT) | instid1(VALU_DEP_1)
	v_rcp_f64_e32 v[26:27], v[18:19]
	v_rcp_f64_e32 v[28:29], v[20:21]
	s_delay_alu instid0(TRANS32_DEP_2) | instskip(NEXT) | instid1(TRANS32_DEP_1)
	v_fma_f64 v[30:31], -v[18:19], v[26:27], 1.0
	v_fma_f64 v[32:33], -v[20:21], v[28:29], 1.0
	s_delay_alu instid0(VALU_DEP_2) | instskip(NEXT) | instid1(VALU_DEP_2)
	v_fmac_f64_e32 v[26:27], v[26:27], v[30:31]
	v_fmac_f64_e32 v[28:29], v[28:29], v[32:33]
	s_delay_alu instid0(VALU_DEP_2) | instskip(NEXT) | instid1(VALU_DEP_2)
	v_fma_f64 v[30:31], -v[18:19], v[26:27], 1.0
	v_fma_f64 v[32:33], -v[20:21], v[28:29], 1.0
	s_delay_alu instid0(VALU_DEP_2) | instskip(SKIP_1) | instid1(VALU_DEP_3)
	v_fmac_f64_e32 v[26:27], v[26:27], v[30:31]
	v_div_scale_f64 v[30:31], s0, v[22:23], v[16:17], v[22:23]
	v_fmac_f64_e32 v[28:29], v[28:29], v[32:33]
	s_delay_alu instid0(VALU_DEP_3) | instskip(NEXT) | instid1(VALU_DEP_2)
	v_mul_f64_e32 v[32:33], v[34:35], v[26:27]
	v_mul_f64_e32 v[36:37], v[30:31], v[28:29]
	s_delay_alu instid0(VALU_DEP_2) | instskip(NEXT) | instid1(VALU_DEP_2)
	v_fma_f64 v[18:19], -v[18:19], v[32:33], v[34:35]
	v_fma_f64 v[20:21], -v[20:21], v[36:37], v[30:31]
	s_delay_alu instid0(VALU_DEP_2) | instskip(SKIP_2) | instid1(VALU_DEP_2)
	v_div_fmas_f64 v[18:19], v[18:19], v[26:27], v[32:33]
	s_mov_b32 vcc_lo, s0
	s_mov_b32 s0, exec_lo
	v_div_fmas_f64 v[26:27], v[20:21], v[28:29], v[36:37]
	s_delay_alu instid0(VALU_DEP_2)
	v_div_fixup_f64 v[2:3], v[18:19], v[12:13], v[2:3]
	ds_load_2addr_stride64_b64 v[18:21], v9 offset0:16 offset1:32
	v_div_fixup_f64 v[12:13], v[26:27], v[16:17], v[22:23]
	s_wait_dscnt 0x0
	v_fma_f64 v[22:23], -v[2:3], v[18:19], v[24:25]
	v_fma_f64 v[6:7], -v[2:3], v[20:21], v[6:7]
	ds_load_2addr_stride64_b64 v[16:19], v38 offset0:16 offset1:32
	v_mul_f64_e64 v[2:3], v[2:3], -v[10:11]
	s_wait_dscnt 0x0
	s_barrier_signal -1
	s_barrier_wait -1
	v_mul_f64_e64 v[10:11], v[12:13], -v[16:17]
	v_fma_f64 v[14:15], -v[12:13], v[14:15], v[22:23]
	v_fma_f64 v[6:7], -v[12:13], v[18:19], v[6:7]
	ds_store_b64 v4, v[14:15]
	ds_store_b64 v8, v[6:7] offset:16384
	ds_store_b64 v8, v[2:3]
	ds_store_b64 v5, v[10:11]
	s_wait_dscnt 0x0
	s_barrier_signal -1
	s_barrier_wait -1
	v_cmpx_gt_u32_e32 0x100, v0
	s_cbranch_execz .LBB37_14
; %bb.9:
	v_or_b32_e32 v6, 0x100, v0
	v_or_b32_e32 v7, 0x4000, v8
	s_mov_b32 s1, exec_lo
                                        ; implicit-def: $vgpr2_vgpr3
	s_delay_alu instid0(VALU_DEP_2)
	v_cmpx_le_i32_e64 s3, v6
	s_xor_b32 s1, exec_lo, s1
	s_cbranch_execz .LBB37_11
; %bb.10:
	ds_load_b64 v[2:3], v7
	ds_load_b64 v[4:5], v4
	s_wait_dscnt 0x0
	v_div_scale_f64 v[6:7], null, v[4:5], v[4:5], v[2:3]
	s_delay_alu instid0(VALU_DEP_1) | instskip(SKIP_1) | instid1(TRANS32_DEP_1)
	v_rcp_f64_e32 v[10:11], v[6:7]
	v_nop
	v_fma_f64 v[12:13], -v[6:7], v[10:11], 1.0
	s_delay_alu instid0(VALU_DEP_1) | instskip(NEXT) | instid1(VALU_DEP_1)
	v_fmac_f64_e32 v[10:11], v[10:11], v[12:13]
	v_fma_f64 v[12:13], -v[6:7], v[10:11], 1.0
	s_delay_alu instid0(VALU_DEP_1) | instskip(SKIP_1) | instid1(VALU_DEP_1)
	v_fmac_f64_e32 v[10:11], v[10:11], v[12:13]
	v_div_scale_f64 v[12:13], vcc_lo, v[2:3], v[4:5], v[2:3]
	v_mul_f64_e32 v[14:15], v[12:13], v[10:11]
	s_delay_alu instid0(VALU_DEP_1) | instskip(NEXT) | instid1(VALU_DEP_1)
	v_fma_f64 v[6:7], -v[6:7], v[14:15], v[12:13]
	v_div_fmas_f64 v[6:7], v[6:7], v[10:11], v[14:15]
	s_delay_alu instid0(VALU_DEP_1)
	v_div_fixup_f64 v[2:3], v[6:7], v[4:5], v[2:3]
                                        ; implicit-def: $vgpr4
                                        ; implicit-def: $vgpr5
                                        ; implicit-def: $vgpr7
                                        ; implicit-def: $vgpr6
.LBB37_11:
	s_and_not1_saveexec_b32 s1, s1
	s_cbranch_execz .LBB37_13
; %bb.12:
	ds_load_b64 v[14:15], v5
	ds_load_b64 v[16:17], v8 offset:2048
	ds_load_2addr_stride64_b64 v[2:5], v4 offset1:4
	v_mov_b32_e32 v0, v6
	s_wait_dscnt 0x1
	v_mul_f64_e32 v[10:11], v[14:15], v[16:17]
	s_wait_dscnt 0x0
	s_delay_alu instid0(VALU_DEP_1) | instskip(NEXT) | instid1(VALU_DEP_1)
	v_fma_f64 v[18:19], v[4:5], v[2:3], -v[10:11]
	v_div_scale_f64 v[10:11], null, v[18:19], v[18:19], 1.0
	v_div_scale_f64 v[22:23], vcc_lo, 1.0, v[18:19], 1.0
	s_delay_alu instid0(VALU_DEP_2) | instskip(SKIP_1) | instid1(TRANS32_DEP_1)
	v_rcp_f64_e32 v[20:21], v[10:11]
	v_nop
	v_fma_f64 v[12:13], -v[10:11], v[20:21], 1.0
	s_delay_alu instid0(VALU_DEP_1) | instskip(NEXT) | instid1(VALU_DEP_1)
	v_fmac_f64_e32 v[20:21], v[20:21], v[12:13]
	v_fma_f64 v[12:13], -v[10:11], v[20:21], 1.0
	s_delay_alu instid0(VALU_DEP_1) | instskip(NEXT) | instid1(VALU_DEP_1)
	v_fmac_f64_e32 v[20:21], v[20:21], v[12:13]
	v_mul_f64_e32 v[24:25], v[22:23], v[20:21]
	s_delay_alu instid0(VALU_DEP_1)
	v_fma_f64 v[22:23], -v[10:11], v[24:25], v[22:23]
	ds_load_2addr_stride64_b64 v[10:13], v7 offset1:4
	s_wait_dscnt 0x0
	v_mul_f64_e32 v[14:15], v[14:15], v[12:13]
	v_mul_f64_e32 v[16:17], v[16:17], v[10:11]
	v_div_fmas_f64 v[20:21], v[22:23], v[20:21], v[24:25]
	s_delay_alu instid0(VALU_DEP_3) | instskip(NEXT) | instid1(VALU_DEP_3)
	v_fma_f64 v[4:5], v[4:5], v[10:11], -v[14:15]
	v_fma_f64 v[2:3], v[2:3], v[12:13], -v[16:17]
	s_delay_alu instid0(VALU_DEP_3) | instskip(NEXT) | instid1(VALU_DEP_1)
	v_div_fixup_f64 v[18:19], v[20:21], v[18:19], 1.0
	v_mul_f64_e32 v[4:5], v[18:19], v[4:5]
	s_delay_alu instid0(VALU_DEP_3)
	v_mul_f64_e32 v[2:3], v[18:19], v[2:3]
	ds_store_b64 v8, v[4:5] offset:12288
.LBB37_13:
	s_or_b32 exec_lo, exec_lo, s1
	v_lshlrev_b32_e32 v0, 3, v0
	ds_store_b64 v0, v[2:3] offset:12288
.LBB37_14:
	s_or_b32 exec_lo, exec_lo, s0
	s_wait_dscnt 0x0
	s_barrier_signal -1
	s_barrier_wait -1
	s_and_saveexec_b32 s0, s2
	s_cbranch_execz .LBB37_16
; %bb.15:
	ds_load_b64 v[2:3], v8 offset:12288
	s_wait_dscnt 0x0
	s_wait_kmcnt 0x0
	global_store_b64 v1, v[2:3], s[4:5] scale_offset
.LBB37_16:
	s_endpgm
	.section	.rodata,"a",@progbits
	.p2align	6, 0x0
	.amdhsa_kernel _ZN9rocsparseL44gtsv_nopivot_strided_batch_pcr_shared_kernelILj512EdEEviiiPKT0_S3_S3_PS1_
		.amdhsa_group_segment_fixed_size 20480
		.amdhsa_private_segment_fixed_size 0
		.amdhsa_kernarg_size 48
		.amdhsa_user_sgpr_count 2
		.amdhsa_user_sgpr_dispatch_ptr 0
		.amdhsa_user_sgpr_queue_ptr 0
		.amdhsa_user_sgpr_kernarg_segment_ptr 1
		.amdhsa_user_sgpr_dispatch_id 0
		.amdhsa_user_sgpr_kernarg_preload_length 0
		.amdhsa_user_sgpr_kernarg_preload_offset 0
		.amdhsa_user_sgpr_private_segment_size 0
		.amdhsa_wavefront_size32 1
		.amdhsa_uses_dynamic_stack 0
		.amdhsa_enable_private_segment 0
		.amdhsa_system_sgpr_workgroup_id_x 1
		.amdhsa_system_sgpr_workgroup_id_y 0
		.amdhsa_system_sgpr_workgroup_id_z 0
		.amdhsa_system_sgpr_workgroup_info 0
		.amdhsa_system_vgpr_workitem_id 0
		.amdhsa_next_free_vgpr 39
		.amdhsa_next_free_sgpr 8
		.amdhsa_named_barrier_count 0
		.amdhsa_reserve_vcc 1
		.amdhsa_float_round_mode_32 0
		.amdhsa_float_round_mode_16_64 0
		.amdhsa_float_denorm_mode_32 3
		.amdhsa_float_denorm_mode_16_64 3
		.amdhsa_fp16_overflow 0
		.amdhsa_memory_ordered 1
		.amdhsa_forward_progress 1
		.amdhsa_inst_pref_size 31
		.amdhsa_round_robin_scheduling 0
		.amdhsa_exception_fp_ieee_invalid_op 0
		.amdhsa_exception_fp_denorm_src 0
		.amdhsa_exception_fp_ieee_div_zero 0
		.amdhsa_exception_fp_ieee_overflow 0
		.amdhsa_exception_fp_ieee_underflow 0
		.amdhsa_exception_fp_ieee_inexact 0
		.amdhsa_exception_int_div_zero 0
	.end_amdhsa_kernel
	.section	.text._ZN9rocsparseL44gtsv_nopivot_strided_batch_pcr_shared_kernelILj512EdEEviiiPKT0_S3_S3_PS1_,"axG",@progbits,_ZN9rocsparseL44gtsv_nopivot_strided_batch_pcr_shared_kernelILj512EdEEviiiPKT0_S3_S3_PS1_,comdat
.Lfunc_end37:
	.size	_ZN9rocsparseL44gtsv_nopivot_strided_batch_pcr_shared_kernelILj512EdEEviiiPKT0_S3_S3_PS1_, .Lfunc_end37-_ZN9rocsparseL44gtsv_nopivot_strided_batch_pcr_shared_kernelILj512EdEEviiiPKT0_S3_S3_PS1_
                                        ; -- End function
	.set _ZN9rocsparseL44gtsv_nopivot_strided_batch_pcr_shared_kernelILj512EdEEviiiPKT0_S3_S3_PS1_.num_vgpr, 39
	.set _ZN9rocsparseL44gtsv_nopivot_strided_batch_pcr_shared_kernelILj512EdEEviiiPKT0_S3_S3_PS1_.num_agpr, 0
	.set _ZN9rocsparseL44gtsv_nopivot_strided_batch_pcr_shared_kernelILj512EdEEviiiPKT0_S3_S3_PS1_.numbered_sgpr, 8
	.set _ZN9rocsparseL44gtsv_nopivot_strided_batch_pcr_shared_kernelILj512EdEEviiiPKT0_S3_S3_PS1_.num_named_barrier, 0
	.set _ZN9rocsparseL44gtsv_nopivot_strided_batch_pcr_shared_kernelILj512EdEEviiiPKT0_S3_S3_PS1_.private_seg_size, 0
	.set _ZN9rocsparseL44gtsv_nopivot_strided_batch_pcr_shared_kernelILj512EdEEviiiPKT0_S3_S3_PS1_.uses_vcc, 1
	.set _ZN9rocsparseL44gtsv_nopivot_strided_batch_pcr_shared_kernelILj512EdEEviiiPKT0_S3_S3_PS1_.uses_flat_scratch, 0
	.set _ZN9rocsparseL44gtsv_nopivot_strided_batch_pcr_shared_kernelILj512EdEEviiiPKT0_S3_S3_PS1_.has_dyn_sized_stack, 0
	.set _ZN9rocsparseL44gtsv_nopivot_strided_batch_pcr_shared_kernelILj512EdEEviiiPKT0_S3_S3_PS1_.has_recursion, 0
	.set _ZN9rocsparseL44gtsv_nopivot_strided_batch_pcr_shared_kernelILj512EdEEviiiPKT0_S3_S3_PS1_.has_indirect_call, 0
	.section	.AMDGPU.csdata,"",@progbits
; Kernel info:
; codeLenInByte = 3912
; TotalNumSgprs: 10
; NumVgprs: 39
; ScratchSize: 0
; MemoryBound: 0
; FloatMode: 240
; IeeeMode: 1
; LDSByteSize: 20480 bytes/workgroup (compile time only)
; SGPRBlocks: 0
; VGPRBlocks: 2
; NumSGPRsForWavesPerEU: 10
; NumVGPRsForWavesPerEU: 39
; NamedBarCnt: 0
; Occupancy: 16
; WaveLimiterHint : 0
; COMPUTE_PGM_RSRC2:SCRATCH_EN: 0
; COMPUTE_PGM_RSRC2:USER_SGPR: 2
; COMPUTE_PGM_RSRC2:TRAP_HANDLER: 0
; COMPUTE_PGM_RSRC2:TGID_X_EN: 1
; COMPUTE_PGM_RSRC2:TGID_Y_EN: 0
; COMPUTE_PGM_RSRC2:TGID_Z_EN: 0
; COMPUTE_PGM_RSRC2:TIDIG_COMP_CNT: 0
	.section	.text._ZN9rocsparseL49gtsv_nopivot_strided_batch_pcr_pow2_stage1_kernelILj256EdEEviiiiPKT0_S3_S3_S3_PS1_S4_S4_S4_,"axG",@progbits,_ZN9rocsparseL49gtsv_nopivot_strided_batch_pcr_pow2_stage1_kernelILj256EdEEviiiiPKT0_S3_S3_S3_PS1_S4_S4_S4_,comdat
	.globl	_ZN9rocsparseL49gtsv_nopivot_strided_batch_pcr_pow2_stage1_kernelILj256EdEEviiiiPKT0_S3_S3_S3_PS1_S4_S4_S4_ ; -- Begin function _ZN9rocsparseL49gtsv_nopivot_strided_batch_pcr_pow2_stage1_kernelILj256EdEEviiiiPKT0_S3_S3_S3_PS1_S4_S4_S4_
	.p2align	8
	.type	_ZN9rocsparseL49gtsv_nopivot_strided_batch_pcr_pow2_stage1_kernelILj256EdEEviiiiPKT0_S3_S3_S3_PS1_S4_S4_S4_,@function
_ZN9rocsparseL49gtsv_nopivot_strided_batch_pcr_pow2_stage1_kernelILj256EdEEviiiiPKT0_S3_S3_S3_PS1_S4_S4_S4_: ; @_ZN9rocsparseL49gtsv_nopivot_strided_batch_pcr_pow2_stage1_kernelILj256EdEEviiiiPKT0_S3_S3_S3_PS1_S4_S4_S4_
; %bb.0:
	s_clause 0x1
	s_load_b64 s[2:3], s[0:1], 0x0
	s_load_b32 s14, s[0:1], 0xc
	s_bfe_u32 s13, ttmp6, 0x4000c
	s_bfe_u32 s15, ttmp6, 0x40010
	s_add_co_i32 s13, s13, 1
	s_add_co_i32 s15, s15, 1
	s_load_b256 s[4:11], s[0:1], 0x10
	s_and_b32 s12, ttmp6, 15
	s_bfe_u32 s16, ttmp6, 0x40004
	s_mul_i32 s13, ttmp9, s13
	s_mul_i32 s15, ttmp7, s15
	s_getreg_b32 s17, hwreg(HW_REG_IB_STS2, 6, 4)
	s_add_co_i32 s12, s12, s13
	s_add_co_i32 s16, s16, s15
	s_wait_kmcnt 0x0
	s_add_co_i32 s15, s3, -1
	s_cmp_eq_u32 s17, 0
	s_cselect_b32 s12, ttmp9, s12
	s_cselect_b32 s16, ttmp7, s16
	v_lshl_or_b32 v40, s12, 8, v0
	s_mul_i32 s12, s14, s16
	s_delay_alu instid0(SALU_CYCLE_1) | instskip(NEXT) | instid1(SALU_CYCLE_1)
	s_ashr_i32 s13, s12, 31
	s_lshl_b64 s[12:13], s[12:13], 3
	s_delay_alu instid0(VALU_DEP_1)
	v_subrev_nc_u32_e32 v0, s2, v40
	s_add_nc_u64 s[4:5], s[4:5], s[12:13]
	s_add_nc_u64 s[6:7], s[6:7], s[12:13]
	v_add_min_i32_e64 v28, v40, s2, s15
	s_add_nc_u64 s[8:9], s[8:9], s[12:13]
	v_max_i32_e32 v24, 0, v0
	global_load_b64 v[0:1], v40, s[4:5] scale_offset
	s_clause 0x1
	global_load_b64 v[2:3], v24, s[6:7] scale_offset
	global_load_b64 v[4:5], v28, s[6:7] scale_offset
	s_clause 0x1
	global_load_b64 v[6:7], v40, s[8:9] scale_offset
	global_load_b64 v[8:9], v40, s[6:7] scale_offset
	s_clause 0x1
	global_load_b64 v[10:11], v24, s[4:5] scale_offset
	global_load_b64 v[12:13], v24, s[8:9] scale_offset
	s_wait_xcnt 0x2
	s_add_nc_u64 s[6:7], s[10:11], s[12:13]
	s_clause 0x1
	global_load_b64 v[16:17], v24, s[6:7] scale_offset
	global_load_b64 v[18:19], v40, s[6:7] scale_offset
	s_clause 0x2
	global_load_b64 v[20:21], v28, s[4:5] scale_offset
	global_load_b64 v[22:23], v28, s[8:9] scale_offset
	;; [unrolled: 1-line block ×3, first 2 shown]
	s_wait_xcnt 0x0
	s_load_b256 s[4:11], s[0:1], 0x30
	s_wait_xcnt 0x0
	s_mul_i32 s0, s3, s16
	s_delay_alu instid0(SALU_CYCLE_1) | instskip(NEXT) | instid1(SALU_CYCLE_1)
	s_ashr_i32 s1, s0, 31
	s_lshl_b64 s[0:1], s[0:1], 3
	s_wait_kmcnt 0x0
	s_add_nc_u64 s[6:7], s[6:7], s[0:1]
	s_add_nc_u64 s[8:9], s[8:9], s[0:1]
	s_wait_loadcnt 0x8
	v_div_scale_f64 v[24:25], null, v[4:5], v[4:5], v[6:7]
	v_div_scale_f64 v[14:15], null, v[2:3], v[2:3], v[0:1]
	v_div_scale_f64 v[36:37], vcc_lo, v[0:1], v[2:3], v[0:1]
	s_delay_alu instid0(VALU_DEP_3) | instskip(NEXT) | instid1(VALU_DEP_2)
	v_rcp_f64_e32 v[30:31], v[24:25]
	v_rcp_f64_e32 v[26:27], v[14:15]
	s_delay_alu instid0(TRANS32_DEP_2) | instskip(NEXT) | instid1(TRANS32_DEP_1)
	v_fma_f64 v[34:35], -v[24:25], v[30:31], 1.0
	v_fma_f64 v[32:33], -v[14:15], v[26:27], 1.0
	s_delay_alu instid0(VALU_DEP_2) | instskip(NEXT) | instid1(VALU_DEP_2)
	v_fmac_f64_e32 v[30:31], v[30:31], v[34:35]
	v_fmac_f64_e32 v[26:27], v[26:27], v[32:33]
	s_delay_alu instid0(VALU_DEP_2) | instskip(NEXT) | instid1(VALU_DEP_2)
	v_fma_f64 v[34:35], -v[24:25], v[30:31], 1.0
	v_fma_f64 v[32:33], -v[14:15], v[26:27], 1.0
	s_delay_alu instid0(VALU_DEP_2) | instskip(NEXT) | instid1(VALU_DEP_2)
	v_fmac_f64_e32 v[30:31], v[30:31], v[34:35]
	v_fmac_f64_e32 v[26:27], v[26:27], v[32:33]
	v_div_scale_f64 v[32:33], s2, v[6:7], v[4:5], v[6:7]
	s_delay_alu instid0(VALU_DEP_2) | instskip(NEXT) | instid1(VALU_DEP_2)
	v_mul_f64_e32 v[34:35], v[36:37], v[26:27]
	v_mul_f64_e32 v[38:39], v[32:33], v[30:31]
	s_delay_alu instid0(VALU_DEP_2) | instskip(NEXT) | instid1(VALU_DEP_2)
	v_fma_f64 v[14:15], -v[14:15], v[34:35], v[36:37]
	v_fma_f64 v[24:25], -v[24:25], v[38:39], v[32:33]
	s_delay_alu instid0(VALU_DEP_2) | instskip(SKIP_2) | instid1(VALU_DEP_2)
	v_div_fmas_f64 v[14:15], v[14:15], v[26:27], v[34:35]
	s_mov_b32 vcc_lo, s2
	s_add_nc_u64 s[2:3], s[10:11], s[0:1]
	v_div_fmas_f64 v[24:25], v[24:25], v[30:31], v[38:39]
	s_add_nc_u64 s[0:1], s[4:5], s[0:1]
	s_delay_alu instid0(VALU_DEP_2) | instskip(NEXT) | instid1(VALU_DEP_2)
	v_div_fixup_f64 v[0:1], v[14:15], v[2:3], v[0:1]
	v_div_fixup_f64 v[2:3], v[24:25], v[4:5], v[6:7]
	s_wait_loadcnt 0x3
	s_delay_alu instid0(VALU_DEP_2) | instskip(SKIP_3) | instid1(VALU_DEP_3)
	v_fma_f64 v[4:5], -v[0:1], v[16:17], v[18:19]
	v_fma_f64 v[6:7], -v[0:1], v[12:13], v[8:9]
	v_mul_f64_e64 v[0:1], v[0:1], -v[10:11]
	s_wait_loadcnt 0x0
	v_fma_f64 v[4:5], -v[28:29], v[2:3], v[4:5]
	s_delay_alu instid0(VALU_DEP_3)
	v_fma_f64 v[6:7], -v[2:3], v[20:21], v[6:7]
	v_mul_f64_e64 v[2:3], v[2:3], -v[22:23]
	s_clause 0x3
	global_store_b64 v40, v[4:5], s[2:3] scale_offset
	global_store_b64 v40, v[6:7], s[6:7] scale_offset
	;; [unrolled: 1-line block ×4, first 2 shown]
	s_endpgm
	.section	.rodata,"a",@progbits
	.p2align	6, 0x0
	.amdhsa_kernel _ZN9rocsparseL49gtsv_nopivot_strided_batch_pcr_pow2_stage1_kernelILj256EdEEviiiiPKT0_S3_S3_S3_PS1_S4_S4_S4_
		.amdhsa_group_segment_fixed_size 0
		.amdhsa_private_segment_fixed_size 0
		.amdhsa_kernarg_size 80
		.amdhsa_user_sgpr_count 2
		.amdhsa_user_sgpr_dispatch_ptr 0
		.amdhsa_user_sgpr_queue_ptr 0
		.amdhsa_user_sgpr_kernarg_segment_ptr 1
		.amdhsa_user_sgpr_dispatch_id 0
		.amdhsa_user_sgpr_kernarg_preload_length 0
		.amdhsa_user_sgpr_kernarg_preload_offset 0
		.amdhsa_user_sgpr_private_segment_size 0
		.amdhsa_wavefront_size32 1
		.amdhsa_uses_dynamic_stack 0
		.amdhsa_enable_private_segment 0
		.amdhsa_system_sgpr_workgroup_id_x 1
		.amdhsa_system_sgpr_workgroup_id_y 1
		.amdhsa_system_sgpr_workgroup_id_z 0
		.amdhsa_system_sgpr_workgroup_info 0
		.amdhsa_system_vgpr_workitem_id 0
		.amdhsa_next_free_vgpr 41
		.amdhsa_next_free_sgpr 18
		.amdhsa_named_barrier_count 0
		.amdhsa_reserve_vcc 1
		.amdhsa_float_round_mode_32 0
		.amdhsa_float_round_mode_16_64 0
		.amdhsa_float_denorm_mode_32 3
		.amdhsa_float_denorm_mode_16_64 3
		.amdhsa_fp16_overflow 0
		.amdhsa_memory_ordered 1
		.amdhsa_forward_progress 1
		.amdhsa_inst_pref_size 6
		.amdhsa_round_robin_scheduling 0
		.amdhsa_exception_fp_ieee_invalid_op 0
		.amdhsa_exception_fp_denorm_src 0
		.amdhsa_exception_fp_ieee_div_zero 0
		.amdhsa_exception_fp_ieee_overflow 0
		.amdhsa_exception_fp_ieee_underflow 0
		.amdhsa_exception_fp_ieee_inexact 0
		.amdhsa_exception_int_div_zero 0
	.end_amdhsa_kernel
	.section	.text._ZN9rocsparseL49gtsv_nopivot_strided_batch_pcr_pow2_stage1_kernelILj256EdEEviiiiPKT0_S3_S3_S3_PS1_S4_S4_S4_,"axG",@progbits,_ZN9rocsparseL49gtsv_nopivot_strided_batch_pcr_pow2_stage1_kernelILj256EdEEviiiiPKT0_S3_S3_S3_PS1_S4_S4_S4_,comdat
.Lfunc_end38:
	.size	_ZN9rocsparseL49gtsv_nopivot_strided_batch_pcr_pow2_stage1_kernelILj256EdEEviiiiPKT0_S3_S3_S3_PS1_S4_S4_S4_, .Lfunc_end38-_ZN9rocsparseL49gtsv_nopivot_strided_batch_pcr_pow2_stage1_kernelILj256EdEEviiiiPKT0_S3_S3_S3_PS1_S4_S4_S4_
                                        ; -- End function
	.set _ZN9rocsparseL49gtsv_nopivot_strided_batch_pcr_pow2_stage1_kernelILj256EdEEviiiiPKT0_S3_S3_S3_PS1_S4_S4_S4_.num_vgpr, 41
	.set _ZN9rocsparseL49gtsv_nopivot_strided_batch_pcr_pow2_stage1_kernelILj256EdEEviiiiPKT0_S3_S3_S3_PS1_S4_S4_S4_.num_agpr, 0
	.set _ZN9rocsparseL49gtsv_nopivot_strided_batch_pcr_pow2_stage1_kernelILj256EdEEviiiiPKT0_S3_S3_S3_PS1_S4_S4_S4_.numbered_sgpr, 18
	.set _ZN9rocsparseL49gtsv_nopivot_strided_batch_pcr_pow2_stage1_kernelILj256EdEEviiiiPKT0_S3_S3_S3_PS1_S4_S4_S4_.num_named_barrier, 0
	.set _ZN9rocsparseL49gtsv_nopivot_strided_batch_pcr_pow2_stage1_kernelILj256EdEEviiiiPKT0_S3_S3_S3_PS1_S4_S4_S4_.private_seg_size, 0
	.set _ZN9rocsparseL49gtsv_nopivot_strided_batch_pcr_pow2_stage1_kernelILj256EdEEviiiiPKT0_S3_S3_S3_PS1_S4_S4_S4_.uses_vcc, 1
	.set _ZN9rocsparseL49gtsv_nopivot_strided_batch_pcr_pow2_stage1_kernelILj256EdEEviiiiPKT0_S3_S3_S3_PS1_S4_S4_S4_.uses_flat_scratch, 0
	.set _ZN9rocsparseL49gtsv_nopivot_strided_batch_pcr_pow2_stage1_kernelILj256EdEEviiiiPKT0_S3_S3_S3_PS1_S4_S4_S4_.has_dyn_sized_stack, 0
	.set _ZN9rocsparseL49gtsv_nopivot_strided_batch_pcr_pow2_stage1_kernelILj256EdEEviiiiPKT0_S3_S3_S3_PS1_S4_S4_S4_.has_recursion, 0
	.set _ZN9rocsparseL49gtsv_nopivot_strided_batch_pcr_pow2_stage1_kernelILj256EdEEviiiiPKT0_S3_S3_S3_PS1_S4_S4_S4_.has_indirect_call, 0
	.section	.AMDGPU.csdata,"",@progbits
; Kernel info:
; codeLenInByte = 692
; TotalNumSgprs: 20
; NumVgprs: 41
; ScratchSize: 0
; MemoryBound: 0
; FloatMode: 240
; IeeeMode: 1
; LDSByteSize: 0 bytes/workgroup (compile time only)
; SGPRBlocks: 0
; VGPRBlocks: 2
; NumSGPRsForWavesPerEU: 20
; NumVGPRsForWavesPerEU: 41
; NamedBarCnt: 0
; Occupancy: 16
; WaveLimiterHint : 0
; COMPUTE_PGM_RSRC2:SCRATCH_EN: 0
; COMPUTE_PGM_RSRC2:USER_SGPR: 2
; COMPUTE_PGM_RSRC2:TRAP_HANDLER: 0
; COMPUTE_PGM_RSRC2:TGID_X_EN: 1
; COMPUTE_PGM_RSRC2:TGID_Y_EN: 1
; COMPUTE_PGM_RSRC2:TGID_Z_EN: 0
; COMPUTE_PGM_RSRC2:TIDIG_COMP_CNT: 0
	.section	.text._ZN9rocsparseL48gtsv_nopivot_strided_batch_cr_pow2_stage2_kernelILj256EdEEviiiPKT0_S3_S3_S3_PS1_,"axG",@progbits,_ZN9rocsparseL48gtsv_nopivot_strided_batch_cr_pow2_stage2_kernelILj256EdEEviiiPKT0_S3_S3_S3_PS1_,comdat
	.globl	_ZN9rocsparseL48gtsv_nopivot_strided_batch_cr_pow2_stage2_kernelILj256EdEEviiiPKT0_S3_S3_S3_PS1_ ; -- Begin function _ZN9rocsparseL48gtsv_nopivot_strided_batch_cr_pow2_stage2_kernelILj256EdEEviiiPKT0_S3_S3_S3_PS1_
	.p2align	8
	.type	_ZN9rocsparseL48gtsv_nopivot_strided_batch_cr_pow2_stage2_kernelILj256EdEEviiiPKT0_S3_S3_S3_PS1_,@function
_ZN9rocsparseL48gtsv_nopivot_strided_batch_cr_pow2_stage2_kernelILj256EdEEviiiPKT0_S3_S3_S3_PS1_: ; @_ZN9rocsparseL48gtsv_nopivot_strided_batch_cr_pow2_stage2_kernelILj256EdEEviiiPKT0_S3_S3_S3_PS1_
; %bb.0:
	s_load_b32 s2, s[0:1], 0x38
	s_bfe_u32 s4, ttmp6, 0x4000c
	s_bfe_u32 s5, ttmp6, 0x40010
	s_load_b32 s8, s[0:1], 0x0
	s_add_co_i32 s4, s4, 1
	s_add_co_i32 s5, s5, 1
	s_and_b32 s3, ttmp6, 15
	s_bfe_u32 s6, ttmp6, 0x40004
	s_mul_i32 s4, ttmp9, s4
	s_mul_i32 s5, ttmp7, s5
	s_getreg_b32 s7, hwreg(HW_REG_IB_STS2, 6, 4)
	s_add_co_i32 s3, s3, s4
	s_add_co_i32 s6, s6, s5
	s_cmp_eq_u32 s7, 0
	s_load_b256 s[12:19], s[0:1], 0x10
	s_cselect_b32 s3, ttmp9, s3
	s_cselect_b32 s11, ttmp7, s6
	v_mov_b64_e32 v[22:23], 0
	v_lshlrev_b32_e32 v5, 3, v0
	s_wait_kmcnt 0x0
	v_mad_u32 v1, s2, v0, s3
	s_mul_i32 s8, s8, s11
	s_delay_alu instid0(VALU_DEP_1) | instskip(SKIP_2) | instid1(VALU_DEP_3)
	v_lshl_add_u32 v4, s2, 8, v1
	v_add_nc_u32_e32 v2, s8, v1
	v_cmp_gt_u32_e64 s2, 0x100, v0
	v_add_nc_u32_e32 v3, s8, v4
	s_clause 0x3
	global_load_b64 v[6:7], v2, s[12:13] scale_offset
	global_load_b64 v[8:9], v2, s[14:15] scale_offset
	global_load_b64 v[10:11], v2, s[16:17] scale_offset
	global_load_b64 v[12:13], v2, s[18:19] scale_offset
	s_clause 0x3
	global_load_b64 v[14:15], v3, s[12:13] scale_offset
	global_load_b64 v[16:17], v3, s[14:15] scale_offset
	;; [unrolled: 1-line block ×4, first 2 shown]
	s_wait_xcnt 0x4
	v_add_nc_u32_e32 v2, 1, v0
	ds_store_2addr_stride64_b64 v5, v[22:23], v[22:23] offset0:24 offset1:28
	s_wait_loadcnt 0x3
	ds_store_2addr_stride64_b64 v5, v[6:7], v[14:15] offset1:4
	s_wait_loadcnt 0x2
	ds_store_2addr_stride64_b64 v5, v[8:9], v[16:17] offset0:8 offset1:12
	s_wait_loadcnt 0x1
	ds_store_2addr_stride64_b64 v5, v[10:11], v[18:19] offset0:16 offset1:20
	;; [unrolled: 2-line block ×3, first 2 shown]
	s_wait_dscnt 0x0
	s_barrier_signal -1
	s_barrier_wait -1
	s_and_saveexec_b32 s4, s2
	s_cbranch_execz .LBB39_2
; %bb.1:
	v_dual_lshlrev_b32 v3, 4, v2 :: v_dual_lshlrev_b32 v14, 1, v2
	s_delay_alu instid0(VALU_DEP_1) | instskip(NEXT) | instid1(VALU_DEP_1)
	v_min_u32_e32 v22, 0x1ff, v14
	v_dual_add_nc_u32 v10, -16, v3 :: v_dual_lshlrev_b32 v42, 3, v22
	ds_load_b128 v[6:9], v3 offset:4080
	ds_load_b128 v[10:13], v10
	ds_load_b128 v[14:17], v3 offset:8176
	ds_load_b128 v[18:21], v3 offset:16368
	ds_load_2addr_stride64_b64 v[22:25], v42 offset1:8
	s_wait_dscnt 0x3
	v_div_scale_f64 v[26:27], null, v[6:7], v[6:7], v[12:13]
	v_div_scale_f64 v[38:39], vcc_lo, v[12:13], v[6:7], v[12:13]
	s_wait_dscnt 0x0
	v_div_scale_f64 v[28:29], null, v[24:25], v[24:25], v[16:17]
	s_delay_alu instid0(VALU_DEP_3) | instskip(NEXT) | instid1(VALU_DEP_1)
	v_rcp_f64_e32 v[30:31], v[26:27]
	v_rcp_f64_e32 v[32:33], v[28:29]
	s_delay_alu instid0(TRANS32_DEP_2) | instskip(NEXT) | instid1(TRANS32_DEP_1)
	v_fma_f64 v[34:35], -v[26:27], v[30:31], 1.0
	v_fma_f64 v[36:37], -v[28:29], v[32:33], 1.0
	s_delay_alu instid0(VALU_DEP_2) | instskip(NEXT) | instid1(VALU_DEP_2)
	v_fmac_f64_e32 v[30:31], v[30:31], v[34:35]
	v_fmac_f64_e32 v[32:33], v[32:33], v[36:37]
	s_delay_alu instid0(VALU_DEP_2) | instskip(NEXT) | instid1(VALU_DEP_2)
	v_fma_f64 v[34:35], -v[26:27], v[30:31], 1.0
	v_fma_f64 v[36:37], -v[28:29], v[32:33], 1.0
	s_delay_alu instid0(VALU_DEP_2) | instskip(SKIP_1) | instid1(VALU_DEP_3)
	v_fmac_f64_e32 v[30:31], v[30:31], v[34:35]
	v_div_scale_f64 v[34:35], s3, v[16:17], v[24:25], v[16:17]
	v_fmac_f64_e32 v[32:33], v[32:33], v[36:37]
	s_delay_alu instid0(VALU_DEP_3) | instskip(NEXT) | instid1(VALU_DEP_2)
	v_mul_f64_e32 v[36:37], v[38:39], v[30:31]
	v_mul_f64_e32 v[40:41], v[34:35], v[32:33]
	s_delay_alu instid0(VALU_DEP_2) | instskip(NEXT) | instid1(VALU_DEP_2)
	v_fma_f64 v[26:27], -v[26:27], v[36:37], v[38:39]
	v_fma_f64 v[28:29], -v[28:29], v[40:41], v[34:35]
	s_delay_alu instid0(VALU_DEP_2) | instskip(SKIP_1) | instid1(VALU_DEP_2)
	v_div_fmas_f64 v[26:27], v[26:27], v[30:31], v[36:37]
	s_mov_b32 vcc_lo, s3
	v_div_fmas_f64 v[28:29], v[28:29], v[32:33], v[40:41]
	s_delay_alu instid0(VALU_DEP_2) | instskip(NEXT) | instid1(VALU_DEP_2)
	v_div_fixup_f64 v[12:13], v[26:27], v[6:7], v[12:13]
	v_div_fixup_f64 v[16:17], v[28:29], v[24:25], v[16:17]
	s_delay_alu instid0(VALU_DEP_2)
	v_fma_f64 v[18:19], -v[12:13], v[18:19], v[20:21]
	v_fma_f64 v[14:15], -v[12:13], v[14:15], v[8:9]
	ds_load_2addr_stride64_b64 v[6:9], v42 offset0:16 offset1:32
	v_mul_f64_e64 v[10:11], v[12:13], -v[10:11]
	s_wait_dscnt 0x0
	v_mul_f64_e64 v[6:7], v[16:17], -v[6:7]
	v_fma_f64 v[8:9], -v[16:17], v[8:9], v[18:19]
	v_fma_f64 v[12:13], -v[16:17], v[22:23], v[14:15]
	v_add_nc_u32_e32 v14, -8, v3
	v_add_nc_u32_e32 v15, 0x1f8, v3
	ds_store_b64 v3, v[8:9] offset:16376
	ds_store_b64 v14, v[10:11]
	ds_store_2addr_stride64_b64 v15, v[12:13], v[6:7] offset0:7 offset1:15
.LBB39_2:
	s_or_b32 exec_lo, exec_lo, s4
	v_cmp_gt_u32_e64 s3, 0x80, v0
	s_wait_dscnt 0x0
	s_barrier_signal -1
	s_barrier_wait -1
	s_and_saveexec_b32 s5, s3
	s_cbranch_execz .LBB39_4
; %bb.3:
	v_lshlrev_b32_e32 v3, 5, v2
	v_lshl_or_b32 v10, v2, 2, 1
	s_delay_alu instid0(VALU_DEP_2) | instskip(NEXT) | instid1(VALU_DEP_2)
	v_add_nc_u32_e32 v6, 0x800, v3
	v_min_u32_e32 v10, 0x1ff, v10
	v_add_nc_u32_e32 v38, -8, v3
	v_subrev_nc_u32_e32 v11, 24, v3
	s_delay_alu instid0(VALU_DEP_3)
	v_lshlrev_b32_e32 v39, 3, v10
	ds_load_b64 v[18:19], v38
	ds_load_2addr_b64 v[6:9], v6 offset0:253 offset1:255
	ds_load_b64 v[22:23], v11
	v_add_nc_u32_e32 v11, 0x1800, v3
	ds_load_2addr_b64 v[10:13], v11 offset0:253 offset1:255
	ds_load_2addr_stride64_b64 v[14:17], v39 offset1:8
	s_wait_dscnt 0x3
	v_div_scale_f64 v[20:21], null, v[6:7], v[6:7], v[18:19]
	v_div_scale_f64 v[34:35], vcc_lo, v[18:19], v[6:7], v[18:19]
	s_wait_dscnt 0x0
	v_div_scale_f64 v[24:25], null, v[16:17], v[16:17], v[12:13]
	s_delay_alu instid0(VALU_DEP_3) | instskip(NEXT) | instid1(VALU_DEP_1)
	v_rcp_f64_e32 v[26:27], v[20:21]
	v_rcp_f64_e32 v[28:29], v[24:25]
	s_delay_alu instid0(TRANS32_DEP_2) | instskip(NEXT) | instid1(TRANS32_DEP_1)
	v_fma_f64 v[30:31], -v[20:21], v[26:27], 1.0
	v_fma_f64 v[32:33], -v[24:25], v[28:29], 1.0
	s_delay_alu instid0(VALU_DEP_2) | instskip(NEXT) | instid1(VALU_DEP_2)
	v_fmac_f64_e32 v[26:27], v[26:27], v[30:31]
	v_fmac_f64_e32 v[28:29], v[28:29], v[32:33]
	s_delay_alu instid0(VALU_DEP_2) | instskip(NEXT) | instid1(VALU_DEP_2)
	v_fma_f64 v[30:31], -v[20:21], v[26:27], 1.0
	v_fma_f64 v[32:33], -v[24:25], v[28:29], 1.0
	s_delay_alu instid0(VALU_DEP_2) | instskip(SKIP_1) | instid1(VALU_DEP_3)
	v_fmac_f64_e32 v[26:27], v[26:27], v[30:31]
	v_div_scale_f64 v[30:31], s4, v[12:13], v[16:17], v[12:13]
	v_fmac_f64_e32 v[28:29], v[28:29], v[32:33]
	s_delay_alu instid0(VALU_DEP_3) | instskip(NEXT) | instid1(VALU_DEP_2)
	v_mul_f64_e32 v[32:33], v[34:35], v[26:27]
	v_mul_f64_e32 v[36:37], v[30:31], v[28:29]
	s_delay_alu instid0(VALU_DEP_2) | instskip(NEXT) | instid1(VALU_DEP_2)
	v_fma_f64 v[20:21], -v[20:21], v[32:33], v[34:35]
	v_fma_f64 v[24:25], -v[24:25], v[36:37], v[30:31]
	s_delay_alu instid0(VALU_DEP_2) | instskip(SKIP_1) | instid1(VALU_DEP_2)
	v_div_fmas_f64 v[20:21], v[20:21], v[26:27], v[32:33]
	s_mov_b32 vcc_lo, s4
	v_div_fmas_f64 v[24:25], v[24:25], v[28:29], v[36:37]
	s_delay_alu instid0(VALU_DEP_2)
	v_div_fixup_f64 v[26:27], v[20:21], v[6:7], v[18:19]
	v_add_nc_u32_e32 v6, 0x3800, v3
	ds_load_2addr_b64 v[18:21], v6 offset0:253 offset1:255
	v_div_fixup_f64 v[12:13], v[24:25], v[16:17], v[12:13]
	s_wait_dscnt 0x0
	v_fma_f64 v[16:17], -v[26:27], v[18:19], v[20:21]
	v_fma_f64 v[10:11], -v[26:27], v[10:11], v[8:9]
	ds_load_2addr_stride64_b64 v[6:9], v39 offset0:16 offset1:32
	v_mul_f64_e64 v[18:19], v[26:27], -v[22:23]
	s_wait_dscnt 0x0
	v_mul_f64_e64 v[6:7], v[12:13], -v[6:7]
	v_fma_f64 v[8:9], -v[12:13], v[8:9], v[16:17]
	v_fma_f64 v[10:11], -v[12:13], v[14:15], v[10:11]
	v_add_nc_u32_e32 v12, 0x1f8, v3
	ds_store_b64 v3, v[8:9] offset:16376
	ds_store_b64 v38, v[18:19]
	ds_store_2addr_stride64_b64 v12, v[10:11], v[6:7] offset0:7 offset1:15
.LBB39_4:
	s_or_b32 exec_lo, exec_lo, s5
	v_cmp_gt_u32_e64 s4, 64, v0
	s_wait_dscnt 0x0
	s_barrier_signal -1
	s_barrier_wait -1
	s_and_saveexec_b32 s6, s4
	s_cbranch_execz .LBB39_6
; %bb.5:
	v_lshlrev_b32_e32 v3, 6, v2
	v_lshl_or_b32 v10, v2, 3, 3
	s_delay_alu instid0(VALU_DEP_2) | instskip(NEXT) | instid1(VALU_DEP_2)
	v_add_nc_u32_e32 v6, 0x800, v3
	v_min_u32_e32 v10, 0x1ff, v10
	v_add_nc_u32_e32 v38, -8, v3
	v_subrev_nc_u32_e32 v11, 40, v3
	s_delay_alu instid0(VALU_DEP_3)
	v_lshlrev_b32_e32 v39, 3, v10
	ds_load_b64 v[18:19], v38
	ds_load_2addr_b64 v[6:9], v6 offset0:251 offset1:255
	ds_load_b64 v[22:23], v11
	v_add_nc_u32_e32 v11, 0x1800, v3
	ds_load_2addr_b64 v[10:13], v11 offset0:251 offset1:255
	ds_load_2addr_stride64_b64 v[14:17], v39 offset1:8
	s_wait_dscnt 0x3
	v_div_scale_f64 v[20:21], null, v[6:7], v[6:7], v[18:19]
	v_div_scale_f64 v[34:35], vcc_lo, v[18:19], v[6:7], v[18:19]
	s_wait_dscnt 0x0
	v_div_scale_f64 v[24:25], null, v[16:17], v[16:17], v[12:13]
	s_delay_alu instid0(VALU_DEP_3) | instskip(NEXT) | instid1(VALU_DEP_1)
	v_rcp_f64_e32 v[26:27], v[20:21]
	v_rcp_f64_e32 v[28:29], v[24:25]
	s_delay_alu instid0(TRANS32_DEP_2) | instskip(NEXT) | instid1(TRANS32_DEP_1)
	v_fma_f64 v[30:31], -v[20:21], v[26:27], 1.0
	v_fma_f64 v[32:33], -v[24:25], v[28:29], 1.0
	s_delay_alu instid0(VALU_DEP_2) | instskip(NEXT) | instid1(VALU_DEP_2)
	v_fmac_f64_e32 v[26:27], v[26:27], v[30:31]
	v_fmac_f64_e32 v[28:29], v[28:29], v[32:33]
	s_delay_alu instid0(VALU_DEP_2) | instskip(NEXT) | instid1(VALU_DEP_2)
	v_fma_f64 v[30:31], -v[20:21], v[26:27], 1.0
	v_fma_f64 v[32:33], -v[24:25], v[28:29], 1.0
	s_delay_alu instid0(VALU_DEP_2) | instskip(SKIP_1) | instid1(VALU_DEP_3)
	v_fmac_f64_e32 v[26:27], v[26:27], v[30:31]
	v_div_scale_f64 v[30:31], s5, v[12:13], v[16:17], v[12:13]
	v_fmac_f64_e32 v[28:29], v[28:29], v[32:33]
	s_delay_alu instid0(VALU_DEP_3) | instskip(NEXT) | instid1(VALU_DEP_2)
	v_mul_f64_e32 v[32:33], v[34:35], v[26:27]
	v_mul_f64_e32 v[36:37], v[30:31], v[28:29]
	s_delay_alu instid0(VALU_DEP_2) | instskip(NEXT) | instid1(VALU_DEP_2)
	v_fma_f64 v[20:21], -v[20:21], v[32:33], v[34:35]
	v_fma_f64 v[24:25], -v[24:25], v[36:37], v[30:31]
	s_delay_alu instid0(VALU_DEP_2) | instskip(SKIP_1) | instid1(VALU_DEP_2)
	v_div_fmas_f64 v[20:21], v[20:21], v[26:27], v[32:33]
	s_mov_b32 vcc_lo, s5
	v_div_fmas_f64 v[24:25], v[24:25], v[28:29], v[36:37]
	s_delay_alu instid0(VALU_DEP_2)
	v_div_fixup_f64 v[26:27], v[20:21], v[6:7], v[18:19]
	v_add_nc_u32_e32 v6, 0x3800, v3
	ds_load_2addr_b64 v[18:21], v6 offset0:251 offset1:255
	v_div_fixup_f64 v[12:13], v[24:25], v[16:17], v[12:13]
	s_wait_dscnt 0x0
	v_fma_f64 v[16:17], -v[26:27], v[18:19], v[20:21]
	v_fma_f64 v[10:11], -v[26:27], v[10:11], v[8:9]
	ds_load_2addr_stride64_b64 v[6:9], v39 offset0:16 offset1:32
	v_mul_f64_e64 v[18:19], v[26:27], -v[22:23]
	s_wait_dscnt 0x0
	v_mul_f64_e64 v[6:7], v[12:13], -v[6:7]
	v_fma_f64 v[8:9], -v[12:13], v[8:9], v[16:17]
	v_fma_f64 v[10:11], -v[12:13], v[14:15], v[10:11]
	v_add_nc_u32_e32 v12, 0x1f8, v3
	ds_store_b64 v3, v[8:9] offset:16376
	ds_store_b64 v38, v[18:19]
	ds_store_2addr_stride64_b64 v12, v[10:11], v[6:7] offset0:7 offset1:15
.LBB39_6:
	s_or_b32 exec_lo, exec_lo, s6
	v_cmp_gt_u32_e64 s5, 32, v0
	s_wait_dscnt 0x0
	s_barrier_signal -1
	s_barrier_wait -1
	s_and_saveexec_b32 s7, s5
	s_cbranch_execz .LBB39_8
; %bb.7:
	v_lshlrev_b32_e32 v3, 7, v2
	v_lshl_or_b32 v10, v2, 4, 7
	s_delay_alu instid0(VALU_DEP_2) | instskip(NEXT) | instid1(VALU_DEP_2)
	v_add_nc_u32_e32 v6, 0x800, v3
	v_min_u32_e32 v10, 0x1ff, v10
	v_add_nc_u32_e32 v38, -8, v3
	v_add_nc_u32_e32 v11, 0xffffffb8, v3
	s_delay_alu instid0(VALU_DEP_3)
	v_lshlrev_b32_e32 v39, 3, v10
	ds_load_b64 v[18:19], v38
	ds_load_2addr_b64 v[6:9], v6 offset0:247 offset1:255
	ds_load_b64 v[22:23], v11
	v_add_nc_u32_e32 v11, 0x1800, v3
	ds_load_2addr_b64 v[10:13], v11 offset0:247 offset1:255
	ds_load_2addr_stride64_b64 v[14:17], v39 offset1:8
	s_wait_dscnt 0x3
	v_div_scale_f64 v[20:21], null, v[6:7], v[6:7], v[18:19]
	v_div_scale_f64 v[34:35], vcc_lo, v[18:19], v[6:7], v[18:19]
	s_wait_dscnt 0x0
	v_div_scale_f64 v[24:25], null, v[16:17], v[16:17], v[12:13]
	s_delay_alu instid0(VALU_DEP_3) | instskip(NEXT) | instid1(VALU_DEP_1)
	v_rcp_f64_e32 v[26:27], v[20:21]
	v_rcp_f64_e32 v[28:29], v[24:25]
	s_delay_alu instid0(TRANS32_DEP_2) | instskip(NEXT) | instid1(TRANS32_DEP_1)
	v_fma_f64 v[30:31], -v[20:21], v[26:27], 1.0
	v_fma_f64 v[32:33], -v[24:25], v[28:29], 1.0
	s_delay_alu instid0(VALU_DEP_2) | instskip(NEXT) | instid1(VALU_DEP_2)
	v_fmac_f64_e32 v[26:27], v[26:27], v[30:31]
	v_fmac_f64_e32 v[28:29], v[28:29], v[32:33]
	s_delay_alu instid0(VALU_DEP_2) | instskip(NEXT) | instid1(VALU_DEP_2)
	v_fma_f64 v[30:31], -v[20:21], v[26:27], 1.0
	v_fma_f64 v[32:33], -v[24:25], v[28:29], 1.0
	s_delay_alu instid0(VALU_DEP_2) | instskip(SKIP_1) | instid1(VALU_DEP_3)
	v_fmac_f64_e32 v[26:27], v[26:27], v[30:31]
	v_div_scale_f64 v[30:31], s6, v[12:13], v[16:17], v[12:13]
	v_fmac_f64_e32 v[28:29], v[28:29], v[32:33]
	s_delay_alu instid0(VALU_DEP_3) | instskip(NEXT) | instid1(VALU_DEP_2)
	v_mul_f64_e32 v[32:33], v[34:35], v[26:27]
	v_mul_f64_e32 v[36:37], v[30:31], v[28:29]
	s_delay_alu instid0(VALU_DEP_2) | instskip(NEXT) | instid1(VALU_DEP_2)
	v_fma_f64 v[20:21], -v[20:21], v[32:33], v[34:35]
	v_fma_f64 v[24:25], -v[24:25], v[36:37], v[30:31]
	s_delay_alu instid0(VALU_DEP_2) | instskip(SKIP_1) | instid1(VALU_DEP_2)
	v_div_fmas_f64 v[20:21], v[20:21], v[26:27], v[32:33]
	s_mov_b32 vcc_lo, s6
	v_div_fmas_f64 v[24:25], v[24:25], v[28:29], v[36:37]
	s_delay_alu instid0(VALU_DEP_2)
	v_div_fixup_f64 v[26:27], v[20:21], v[6:7], v[18:19]
	v_add_nc_u32_e32 v6, 0x3800, v3
	ds_load_2addr_b64 v[18:21], v6 offset0:247 offset1:255
	v_div_fixup_f64 v[12:13], v[24:25], v[16:17], v[12:13]
	s_wait_dscnt 0x0
	v_fma_f64 v[16:17], -v[26:27], v[18:19], v[20:21]
	v_fma_f64 v[10:11], -v[26:27], v[10:11], v[8:9]
	ds_load_2addr_stride64_b64 v[6:9], v39 offset0:16 offset1:32
	v_mul_f64_e64 v[18:19], v[26:27], -v[22:23]
	s_wait_dscnt 0x0
	v_mul_f64_e64 v[6:7], v[12:13], -v[6:7]
	v_fma_f64 v[8:9], -v[12:13], v[8:9], v[16:17]
	v_fma_f64 v[10:11], -v[12:13], v[14:15], v[10:11]
	v_add_nc_u32_e32 v12, 0x1f8, v3
	ds_store_b64 v3, v[8:9] offset:16376
	ds_store_b64 v38, v[18:19]
	ds_store_2addr_stride64_b64 v12, v[10:11], v[6:7] offset0:7 offset1:15
.LBB39_8:
	s_or_b32 exec_lo, exec_lo, s7
	v_cmp_gt_u32_e64 s6, 16, v0
	s_wait_dscnt 0x0
	s_barrier_signal -1
	s_barrier_wait -1
	s_and_saveexec_b32 s8, s6
	s_cbranch_execz .LBB39_10
; %bb.9:
	v_lshlrev_b32_e32 v3, 8, v2
	v_lshl_or_b32 v10, v2, 5, 15
	s_delay_alu instid0(VALU_DEP_2) | instskip(NEXT) | instid1(VALU_DEP_2)
	v_add_nc_u32_e32 v6, 0x800, v3
	v_min_u32_e32 v10, 0x1ff, v10
	v_add_nc_u32_e32 v38, -8, v3
	v_add_nc_u32_e32 v11, 0xffffff78, v3
	s_delay_alu instid0(VALU_DEP_3)
	v_lshlrev_b32_e32 v39, 3, v10
	ds_load_b64 v[18:19], v38
	ds_load_2addr_b64 v[6:9], v6 offset0:239 offset1:255
	ds_load_b64 v[22:23], v11
	v_add_nc_u32_e32 v11, 0x1800, v3
	ds_load_2addr_b64 v[10:13], v11 offset0:239 offset1:255
	ds_load_2addr_stride64_b64 v[14:17], v39 offset1:8
	s_wait_dscnt 0x3
	v_div_scale_f64 v[20:21], null, v[6:7], v[6:7], v[18:19]
	v_div_scale_f64 v[34:35], vcc_lo, v[18:19], v[6:7], v[18:19]
	s_wait_dscnt 0x0
	v_div_scale_f64 v[24:25], null, v[16:17], v[16:17], v[12:13]
	s_delay_alu instid0(VALU_DEP_3) | instskip(NEXT) | instid1(VALU_DEP_1)
	v_rcp_f64_e32 v[26:27], v[20:21]
	v_rcp_f64_e32 v[28:29], v[24:25]
	s_delay_alu instid0(TRANS32_DEP_2) | instskip(NEXT) | instid1(TRANS32_DEP_1)
	v_fma_f64 v[30:31], -v[20:21], v[26:27], 1.0
	v_fma_f64 v[32:33], -v[24:25], v[28:29], 1.0
	s_delay_alu instid0(VALU_DEP_2) | instskip(NEXT) | instid1(VALU_DEP_2)
	v_fmac_f64_e32 v[26:27], v[26:27], v[30:31]
	v_fmac_f64_e32 v[28:29], v[28:29], v[32:33]
	s_delay_alu instid0(VALU_DEP_2) | instskip(NEXT) | instid1(VALU_DEP_2)
	v_fma_f64 v[30:31], -v[20:21], v[26:27], 1.0
	v_fma_f64 v[32:33], -v[24:25], v[28:29], 1.0
	s_delay_alu instid0(VALU_DEP_2) | instskip(SKIP_1) | instid1(VALU_DEP_3)
	v_fmac_f64_e32 v[26:27], v[26:27], v[30:31]
	v_div_scale_f64 v[30:31], s7, v[12:13], v[16:17], v[12:13]
	v_fmac_f64_e32 v[28:29], v[28:29], v[32:33]
	s_delay_alu instid0(VALU_DEP_3) | instskip(NEXT) | instid1(VALU_DEP_2)
	v_mul_f64_e32 v[32:33], v[34:35], v[26:27]
	v_mul_f64_e32 v[36:37], v[30:31], v[28:29]
	s_delay_alu instid0(VALU_DEP_2) | instskip(NEXT) | instid1(VALU_DEP_2)
	v_fma_f64 v[20:21], -v[20:21], v[32:33], v[34:35]
	v_fma_f64 v[24:25], -v[24:25], v[36:37], v[30:31]
	s_delay_alu instid0(VALU_DEP_2) | instskip(SKIP_1) | instid1(VALU_DEP_2)
	v_div_fmas_f64 v[20:21], v[20:21], v[26:27], v[32:33]
	s_mov_b32 vcc_lo, s7
	v_div_fmas_f64 v[24:25], v[24:25], v[28:29], v[36:37]
	s_delay_alu instid0(VALU_DEP_2)
	v_div_fixup_f64 v[26:27], v[20:21], v[6:7], v[18:19]
	v_add_nc_u32_e32 v6, 0x3800, v3
	ds_load_2addr_b64 v[18:21], v6 offset0:239 offset1:255
	v_div_fixup_f64 v[12:13], v[24:25], v[16:17], v[12:13]
	s_wait_dscnt 0x0
	v_fma_f64 v[16:17], -v[26:27], v[18:19], v[20:21]
	v_fma_f64 v[10:11], -v[26:27], v[10:11], v[8:9]
	ds_load_2addr_stride64_b64 v[6:9], v39 offset0:16 offset1:32
	v_mul_f64_e64 v[18:19], v[26:27], -v[22:23]
	s_wait_dscnt 0x0
	v_mul_f64_e64 v[6:7], v[12:13], -v[6:7]
	v_fma_f64 v[8:9], -v[12:13], v[8:9], v[16:17]
	v_fma_f64 v[10:11], -v[12:13], v[14:15], v[10:11]
	v_add_nc_u32_e32 v12, 0x1f8, v3
	ds_store_b64 v3, v[8:9] offset:16376
	ds_store_b64 v38, v[18:19]
	ds_store_2addr_stride64_b64 v12, v[10:11], v[6:7] offset0:7 offset1:15
.LBB39_10:
	s_or_b32 exec_lo, exec_lo, s8
	v_cmp_gt_u32_e64 s7, 8, v0
	s_wait_dscnt 0x0
	s_barrier_signal -1
	s_barrier_wait -1
	s_and_saveexec_b32 s9, s7
	s_cbranch_execz .LBB39_12
; %bb.11:
	v_lshlrev_b32_e32 v3, 9, v2
	v_lshl_or_b32 v10, v2, 6, 31
	s_delay_alu instid0(VALU_DEP_2) | instskip(NEXT) | instid1(VALU_DEP_2)
	v_add_nc_u32_e32 v6, 0x800, v3
	v_min_u32_e32 v10, 0x1ff, v10
	v_add_nc_u32_e32 v38, -8, v3
	v_add_nc_u32_e32 v11, 0xfffffef8, v3
	s_delay_alu instid0(VALU_DEP_3)
	v_lshlrev_b32_e32 v39, 3, v10
	ds_load_b64 v[18:19], v38
	ds_load_2addr_b64 v[6:9], v6 offset0:223 offset1:255
	ds_load_b64 v[22:23], v11
	v_add_nc_u32_e32 v11, 0x1800, v3
	ds_load_2addr_b64 v[10:13], v11 offset0:223 offset1:255
	ds_load_2addr_stride64_b64 v[14:17], v39 offset1:8
	s_wait_dscnt 0x3
	v_div_scale_f64 v[20:21], null, v[6:7], v[6:7], v[18:19]
	v_div_scale_f64 v[34:35], vcc_lo, v[18:19], v[6:7], v[18:19]
	s_wait_dscnt 0x0
	v_div_scale_f64 v[24:25], null, v[16:17], v[16:17], v[12:13]
	s_delay_alu instid0(VALU_DEP_3) | instskip(NEXT) | instid1(VALU_DEP_1)
	v_rcp_f64_e32 v[26:27], v[20:21]
	v_rcp_f64_e32 v[28:29], v[24:25]
	s_delay_alu instid0(TRANS32_DEP_2) | instskip(NEXT) | instid1(TRANS32_DEP_1)
	v_fma_f64 v[30:31], -v[20:21], v[26:27], 1.0
	v_fma_f64 v[32:33], -v[24:25], v[28:29], 1.0
	s_delay_alu instid0(VALU_DEP_2) | instskip(NEXT) | instid1(VALU_DEP_2)
	v_fmac_f64_e32 v[26:27], v[26:27], v[30:31]
	v_fmac_f64_e32 v[28:29], v[28:29], v[32:33]
	s_delay_alu instid0(VALU_DEP_2) | instskip(NEXT) | instid1(VALU_DEP_2)
	v_fma_f64 v[30:31], -v[20:21], v[26:27], 1.0
	v_fma_f64 v[32:33], -v[24:25], v[28:29], 1.0
	s_delay_alu instid0(VALU_DEP_2) | instskip(SKIP_1) | instid1(VALU_DEP_3)
	v_fmac_f64_e32 v[26:27], v[26:27], v[30:31]
	v_div_scale_f64 v[30:31], s8, v[12:13], v[16:17], v[12:13]
	v_fmac_f64_e32 v[28:29], v[28:29], v[32:33]
	s_delay_alu instid0(VALU_DEP_3) | instskip(NEXT) | instid1(VALU_DEP_2)
	v_mul_f64_e32 v[32:33], v[34:35], v[26:27]
	v_mul_f64_e32 v[36:37], v[30:31], v[28:29]
	s_delay_alu instid0(VALU_DEP_2) | instskip(NEXT) | instid1(VALU_DEP_2)
	v_fma_f64 v[20:21], -v[20:21], v[32:33], v[34:35]
	v_fma_f64 v[24:25], -v[24:25], v[36:37], v[30:31]
	s_delay_alu instid0(VALU_DEP_2) | instskip(SKIP_1) | instid1(VALU_DEP_2)
	v_div_fmas_f64 v[20:21], v[20:21], v[26:27], v[32:33]
	s_mov_b32 vcc_lo, s8
	v_div_fmas_f64 v[24:25], v[24:25], v[28:29], v[36:37]
	s_delay_alu instid0(VALU_DEP_2)
	v_div_fixup_f64 v[26:27], v[20:21], v[6:7], v[18:19]
	v_add_nc_u32_e32 v6, 0x3800, v3
	ds_load_2addr_b64 v[18:21], v6 offset0:223 offset1:255
	v_div_fixup_f64 v[12:13], v[24:25], v[16:17], v[12:13]
	s_wait_dscnt 0x0
	v_fma_f64 v[16:17], -v[26:27], v[18:19], v[20:21]
	v_fma_f64 v[10:11], -v[26:27], v[10:11], v[8:9]
	ds_load_2addr_stride64_b64 v[6:9], v39 offset0:16 offset1:32
	v_mul_f64_e64 v[18:19], v[26:27], -v[22:23]
	s_wait_dscnt 0x0
	v_mul_f64_e64 v[6:7], v[12:13], -v[6:7]
	v_fma_f64 v[8:9], -v[12:13], v[8:9], v[16:17]
	v_fma_f64 v[10:11], -v[12:13], v[14:15], v[10:11]
	v_add_nc_u32_e32 v12, 0x1f8, v3
	ds_store_b64 v3, v[8:9] offset:16376
	ds_store_b64 v38, v[18:19]
	ds_store_2addr_stride64_b64 v12, v[10:11], v[6:7] offset0:7 offset1:15
.LBB39_12:
	s_or_b32 exec_lo, exec_lo, s9
	v_cmp_gt_u32_e64 s9, 4, v0
	s_wait_dscnt 0x0
	s_barrier_signal -1
	s_barrier_wait -1
	s_and_saveexec_b32 s10, s9
	s_cbranch_execz .LBB39_14
; %bb.13:
	v_lshl_or_b32 v10, v2, 7, 63
	s_delay_alu instid0(VALU_DEP_1) | instskip(NEXT) | instid1(VALU_DEP_1)
	v_min_u32_e32 v15, 0x1ff, v10
	v_dual_lshlrev_b32 v3, 10, v2 :: v_dual_lshlrev_b32 v40, 3, v15
	s_delay_alu instid0(VALU_DEP_1)
	v_add_nc_u32_e32 v38, -8, v3
	v_add_nc_u32_e32 v39, 0x1f8, v3
	v_add_nc_u32_e32 v14, 0xfffffdf8, v3
	ds_load_b64 v[18:19], v38
	ds_load_2addr_stride64_b64 v[6:9], v39 offset0:6 offset1:7
	ds_load_2addr_stride64_b64 v[10:13], v39 offset0:14 offset1:15
	ds_load_b64 v[22:23], v14
	ds_load_2addr_stride64_b64 v[14:17], v40 offset1:8
	s_wait_dscnt 0x3
	v_div_scale_f64 v[20:21], null, v[6:7], v[6:7], v[18:19]
	s_wait_dscnt 0x0
	v_div_scale_f64 v[24:25], null, v[16:17], v[16:17], v[12:13]
	v_div_scale_f64 v[34:35], vcc_lo, v[18:19], v[6:7], v[18:19]
	s_delay_alu instid0(VALU_DEP_3) | instskip(NEXT) | instid1(VALU_DEP_2)
	v_rcp_f64_e32 v[26:27], v[20:21]
	v_rcp_f64_e32 v[28:29], v[24:25]
	s_delay_alu instid0(TRANS32_DEP_2) | instskip(NEXT) | instid1(TRANS32_DEP_1)
	v_fma_f64 v[30:31], -v[20:21], v[26:27], 1.0
	v_fma_f64 v[32:33], -v[24:25], v[28:29], 1.0
	s_delay_alu instid0(VALU_DEP_2) | instskip(NEXT) | instid1(VALU_DEP_2)
	v_fmac_f64_e32 v[26:27], v[26:27], v[30:31]
	v_fmac_f64_e32 v[28:29], v[28:29], v[32:33]
	s_delay_alu instid0(VALU_DEP_2) | instskip(NEXT) | instid1(VALU_DEP_2)
	v_fma_f64 v[30:31], -v[20:21], v[26:27], 1.0
	v_fma_f64 v[32:33], -v[24:25], v[28:29], 1.0
	s_delay_alu instid0(VALU_DEP_2) | instskip(SKIP_1) | instid1(VALU_DEP_3)
	v_fmac_f64_e32 v[26:27], v[26:27], v[30:31]
	v_div_scale_f64 v[30:31], s8, v[12:13], v[16:17], v[12:13]
	v_fmac_f64_e32 v[28:29], v[28:29], v[32:33]
	s_delay_alu instid0(VALU_DEP_3) | instskip(NEXT) | instid1(VALU_DEP_2)
	v_mul_f64_e32 v[32:33], v[34:35], v[26:27]
	v_mul_f64_e32 v[36:37], v[30:31], v[28:29]
	s_delay_alu instid0(VALU_DEP_2) | instskip(NEXT) | instid1(VALU_DEP_2)
	v_fma_f64 v[20:21], -v[20:21], v[32:33], v[34:35]
	v_fma_f64 v[24:25], -v[24:25], v[36:37], v[30:31]
	s_delay_alu instid0(VALU_DEP_2) | instskip(SKIP_1) | instid1(VALU_DEP_2)
	v_div_fmas_f64 v[20:21], v[20:21], v[26:27], v[32:33]
	s_mov_b32 vcc_lo, s8
	v_div_fmas_f64 v[24:25], v[24:25], v[28:29], v[36:37]
	s_delay_alu instid0(VALU_DEP_2)
	v_div_fixup_f64 v[26:27], v[20:21], v[6:7], v[18:19]
	ds_load_2addr_stride64_b64 v[18:21], v39 offset0:30 offset1:31
	v_div_fixup_f64 v[12:13], v[24:25], v[16:17], v[12:13]
	s_wait_dscnt 0x0
	v_fma_f64 v[16:17], -v[26:27], v[18:19], v[20:21]
	v_fma_f64 v[10:11], -v[26:27], v[10:11], v[8:9]
	ds_load_2addr_stride64_b64 v[6:9], v40 offset0:16 offset1:32
	v_mul_f64_e64 v[18:19], v[26:27], -v[22:23]
	s_wait_dscnt 0x0
	v_mul_f64_e64 v[6:7], v[12:13], -v[6:7]
	v_fma_f64 v[8:9], -v[12:13], v[8:9], v[16:17]
	v_fma_f64 v[10:11], -v[12:13], v[14:15], v[10:11]
	ds_store_b64 v3, v[8:9] offset:16376
	ds_store_b64 v38, v[18:19]
	ds_store_2addr_stride64_b64 v39, v[10:11], v[6:7] offset0:7 offset1:15
.LBB39_14:
	s_or_b32 exec_lo, exec_lo, s10
	v_cmp_gt_u32_e64 s10, 2, v0
	s_wait_dscnt 0x0
	s_barrier_signal -1
	s_barrier_wait -1
	s_and_saveexec_b32 s12, s10
	s_cbranch_execz .LBB39_16
; %bb.15:
	v_lshlrev_b32_e32 v36, 11, v2
	v_lshl_or_b32 v2, v2, 8, 0x7f
	s_delay_alu instid0(VALU_DEP_2) | instskip(NEXT) | instid1(VALU_DEP_2)
	v_add_nc_u32_e32 v38, 0x1f8, v36
	v_min_u32_e32 v10, 0x1ff, v2
	v_add_nc_u32_e32 v37, -8, v36
	v_add_nc_u32_e32 v3, 0xfffffbf8, v36
	s_delay_alu instid0(VALU_DEP_3)
	v_lshlrev_b32_e32 v39, 3, v10
	ds_load_b64 v[18:19], v37
	ds_load_2addr_stride64_b64 v[6:9], v38 offset0:5 offset1:7
	ds_load_b64 v[2:3], v3
	ds_load_2addr_stride64_b64 v[10:13], v38 offset0:13 offset1:15
	ds_load_2addr_stride64_b64 v[14:17], v39 offset1:8
	s_wait_dscnt 0x3
	v_div_scale_f64 v[20:21], null, v[6:7], v[6:7], v[18:19]
	v_div_scale_f64 v[32:33], vcc_lo, v[18:19], v[6:7], v[18:19]
	s_wait_dscnt 0x0
	v_div_scale_f64 v[22:23], null, v[16:17], v[16:17], v[12:13]
	s_delay_alu instid0(VALU_DEP_3) | instskip(NEXT) | instid1(VALU_DEP_1)
	v_rcp_f64_e32 v[24:25], v[20:21]
	v_rcp_f64_e32 v[26:27], v[22:23]
	s_delay_alu instid0(TRANS32_DEP_2) | instskip(NEXT) | instid1(TRANS32_DEP_1)
	v_fma_f64 v[28:29], -v[20:21], v[24:25], 1.0
	v_fma_f64 v[30:31], -v[22:23], v[26:27], 1.0
	s_delay_alu instid0(VALU_DEP_2) | instskip(NEXT) | instid1(VALU_DEP_2)
	v_fmac_f64_e32 v[24:25], v[24:25], v[28:29]
	v_fmac_f64_e32 v[26:27], v[26:27], v[30:31]
	s_delay_alu instid0(VALU_DEP_2) | instskip(NEXT) | instid1(VALU_DEP_2)
	v_fma_f64 v[28:29], -v[20:21], v[24:25], 1.0
	v_fma_f64 v[30:31], -v[22:23], v[26:27], 1.0
	s_delay_alu instid0(VALU_DEP_2) | instskip(SKIP_1) | instid1(VALU_DEP_3)
	v_fmac_f64_e32 v[24:25], v[24:25], v[28:29]
	v_div_scale_f64 v[28:29], s8, v[12:13], v[16:17], v[12:13]
	v_fmac_f64_e32 v[26:27], v[26:27], v[30:31]
	s_delay_alu instid0(VALU_DEP_3) | instskip(NEXT) | instid1(VALU_DEP_2)
	v_mul_f64_e32 v[30:31], v[32:33], v[24:25]
	v_mul_f64_e32 v[34:35], v[28:29], v[26:27]
	s_delay_alu instid0(VALU_DEP_2) | instskip(NEXT) | instid1(VALU_DEP_2)
	v_fma_f64 v[20:21], -v[20:21], v[30:31], v[32:33]
	v_fma_f64 v[22:23], -v[22:23], v[34:35], v[28:29]
	s_delay_alu instid0(VALU_DEP_2) | instskip(SKIP_1) | instid1(VALU_DEP_2)
	v_div_fmas_f64 v[20:21], v[20:21], v[24:25], v[30:31]
	s_mov_b32 vcc_lo, s8
	v_div_fmas_f64 v[22:23], v[22:23], v[26:27], v[34:35]
	s_delay_alu instid0(VALU_DEP_2)
	v_div_fixup_f64 v[24:25], v[20:21], v[6:7], v[18:19]
	ds_load_2addr_stride64_b64 v[18:21], v38 offset0:29 offset1:31
	v_div_fixup_f64 v[12:13], v[22:23], v[16:17], v[12:13]
	s_wait_dscnt 0x0
	v_fma_f64 v[16:17], -v[24:25], v[18:19], v[20:21]
	v_fma_f64 v[10:11], -v[24:25], v[10:11], v[8:9]
	ds_load_2addr_stride64_b64 v[6:9], v39 offset0:16 offset1:32
	v_mul_f64_e64 v[2:3], v[24:25], -v[2:3]
	s_wait_dscnt 0x0
	v_mul_f64_e64 v[6:7], v[12:13], -v[6:7]
	v_fma_f64 v[8:9], -v[12:13], v[8:9], v[16:17]
	v_fma_f64 v[10:11], -v[12:13], v[14:15], v[10:11]
	ds_store_b64 v36, v[8:9] offset:16376
	ds_store_b64 v37, v[2:3]
	ds_store_2addr_stride64_b64 v38, v[10:11], v[6:7] offset0:7 offset1:15
.LBB39_16:
	s_or_b32 exec_lo, exec_lo, s12
	v_cmp_ne_u32_e64 s8, 0, v0
	s_mov_b32 s12, exec_lo
	s_wait_dscnt 0x0
	s_barrier_signal -1
	s_barrier_wait -1
	v_cmpx_eq_u32_e32 0, v0
	s_cbranch_execz .LBB39_18
; %bb.17:
	v_add_nc_u32_e64 v24, 0x1f8, 0
	ds_load_2addr_stride64_b64 v[6:9], v24 offset0:15 offset1:19
	ds_load_2addr_stride64_b64 v[10:13], v24 offset0:7 offset1:11
	s_wait_dscnt 0x0
	v_mul_f64_e32 v[2:3], v[8:9], v[10:11]
	s_delay_alu instid0(VALU_DEP_1) | instskip(NEXT) | instid1(VALU_DEP_1)
	v_fma_f64 v[2:3], v[6:7], v[12:13], -v[2:3]
	v_div_scale_f64 v[14:15], null, v[2:3], v[2:3], 1.0
	v_div_scale_f64 v[20:21], vcc_lo, 1.0, v[2:3], 1.0
	s_delay_alu instid0(VALU_DEP_2) | instskip(SKIP_1) | instid1(TRANS32_DEP_1)
	v_rcp_f64_e32 v[18:19], v[14:15]
	v_nop
	v_fma_f64 v[16:17], -v[14:15], v[18:19], 1.0
	s_delay_alu instid0(VALU_DEP_1) | instskip(NEXT) | instid1(VALU_DEP_1)
	v_fmac_f64_e32 v[18:19], v[18:19], v[16:17]
	v_fma_f64 v[16:17], -v[14:15], v[18:19], 1.0
	s_delay_alu instid0(VALU_DEP_1) | instskip(NEXT) | instid1(VALU_DEP_1)
	v_fmac_f64_e32 v[18:19], v[18:19], v[16:17]
	v_mul_f64_e32 v[22:23], v[20:21], v[18:19]
	s_delay_alu instid0(VALU_DEP_1)
	v_fma_f64 v[20:21], -v[14:15], v[22:23], v[20:21]
	ds_load_2addr_stride64_b64 v[14:17], v24 offset0:35 offset1:39
	s_wait_dscnt 0x0
	v_mul_f64_e32 v[8:9], v[8:9], v[16:17]
	v_mul_f64_e32 v[10:11], v[10:11], v[14:15]
	v_div_fmas_f64 v[18:19], v[20:21], v[18:19], v[22:23]
	s_delay_alu instid0(VALU_DEP_3) | instskip(NEXT) | instid1(VALU_DEP_3)
	v_fma_f64 v[6:7], v[6:7], v[14:15], -v[8:9]
	v_fma_f64 v[8:9], v[12:13], v[16:17], -v[10:11]
	s_delay_alu instid0(VALU_DEP_3) | instskip(NEXT) | instid1(VALU_DEP_1)
	v_div_fixup_f64 v[2:3], v[18:19], v[2:3], 1.0
	v_mul_f64_e32 v[6:7], v[2:3], v[6:7]
	s_delay_alu instid0(VALU_DEP_3)
	v_mul_f64_e32 v[2:3], v[2:3], v[8:9]
	ds_store_2addr_stride64_b64 v24, v[6:7], v[2:3] offset0:27 offset1:31
.LBB39_18:
	s_or_b32 exec_lo, exec_lo, s12
	s_load_b64 s[12:13], s[0:1], 0x30
	v_lshlrev_b32_e32 v7, 8, v0
	s_wait_dscnt 0x0
	s_barrier_signal -1
	s_barrier_wait -1
	s_and_saveexec_b32 s14, s10
	s_cbranch_execz .LBB39_22
; %bb.19:
	v_dual_lshlrev_b32 v2, 11, v0 :: v_dual_lshlrev_b32 v6, 3, v7
	ds_load_b64 v[2:3], v2 offset:17400
	s_and_saveexec_b32 s10, s8
	s_cbranch_execz .LBB39_21
; %bb.20:
	v_add_nc_u32_e32 v8, 0x1f8, v6
	ds_load_2addr_stride64_b64 v[8:11], v8 offset0:1 offset1:23
	s_wait_dscnt 0x0
	v_fma_f64 v[2:3], -v[8:9], v[10:11], v[2:3]
.LBB39_21:
	s_or_b32 exec_lo, exec_lo, s10
	v_add_nc_u32_e32 v8, 0x1f8, v6
	ds_load_b64 v[12:13], v6 offset:14328
	ds_load_2addr_stride64_b64 v[8:11], v8 offset0:9 offset1:17
	s_wait_dscnt 0x0
	v_fma_f64 v[2:3], -v[10:11], v[12:13], v[2:3]
	s_delay_alu instid0(VALU_DEP_1) | instskip(NEXT) | instid1(VALU_DEP_1)
	v_div_scale_f64 v[10:11], null, v[8:9], v[8:9], v[2:3]
	v_rcp_f64_e32 v[12:13], v[10:11]
	v_nop
	s_delay_alu instid0(TRANS32_DEP_1) | instskip(NEXT) | instid1(VALU_DEP_1)
	v_fma_f64 v[14:15], -v[10:11], v[12:13], 1.0
	v_fmac_f64_e32 v[12:13], v[12:13], v[14:15]
	s_delay_alu instid0(VALU_DEP_1) | instskip(NEXT) | instid1(VALU_DEP_1)
	v_fma_f64 v[14:15], -v[10:11], v[12:13], 1.0
	v_fmac_f64_e32 v[12:13], v[12:13], v[14:15]
	v_div_scale_f64 v[14:15], vcc_lo, v[2:3], v[8:9], v[2:3]
	s_delay_alu instid0(VALU_DEP_1) | instskip(NEXT) | instid1(VALU_DEP_1)
	v_mul_f64_e32 v[16:17], v[14:15], v[12:13]
	v_fma_f64 v[10:11], -v[10:11], v[16:17], v[14:15]
	s_delay_alu instid0(VALU_DEP_1) | instskip(NEXT) | instid1(VALU_DEP_1)
	v_div_fmas_f64 v[10:11], v[10:11], v[12:13], v[16:17]
	v_div_fixup_f64 v[2:3], v[10:11], v[8:9], v[2:3]
	ds_store_b64 v6, v[2:3] offset:13304
.LBB39_22:
	s_or_b32 exec_lo, exec_lo, s14
	v_or_b32_e32 v6, 0x3000, v5
	v_lshlrev_b32_e32 v8, 7, v0
	s_wait_dscnt 0x0
	s_barrier_signal -1
	s_barrier_wait -1
	s_and_saveexec_b32 s10, s9
	s_cbranch_execz .LBB39_26
; %bb.23:
	v_lshlrev_b32_e32 v2, 10, v0
	v_lshlrev_b32_e32 v9, 3, v8
	ds_load_b64 v[2:3], v2 offset:16888
	s_and_saveexec_b32 s9, s8
	s_cbranch_execz .LBB39_25
; %bb.24:
	v_add_nc_u32_e32 v10, 0x1f8, v9
	ds_load_2addr_stride64_b64 v[10:13], v10 offset1:23
	s_wait_dscnt 0x0
	v_fma_f64 v[2:3], -v[10:11], v[12:13], v[2:3]
.LBB39_25:
	s_or_b32 exec_lo, exec_lo, s9
	v_add_nc_u32_e32 v10, 0x1f8, v9
	ds_load_b64 v[14:15], v9 offset:13304
	ds_load_2addr_stride64_b64 v[10:13], v10 offset0:8 offset1:16
	s_wait_dscnt 0x0
	v_fma_f64 v[2:3], -v[12:13], v[14:15], v[2:3]
	s_delay_alu instid0(VALU_DEP_1) | instskip(NEXT) | instid1(VALU_DEP_1)
	v_div_scale_f64 v[12:13], null, v[10:11], v[10:11], v[2:3]
	v_rcp_f64_e32 v[14:15], v[12:13]
	v_nop
	s_delay_alu instid0(TRANS32_DEP_1) | instskip(NEXT) | instid1(VALU_DEP_1)
	v_fma_f64 v[16:17], -v[12:13], v[14:15], 1.0
	v_fmac_f64_e32 v[14:15], v[14:15], v[16:17]
	s_delay_alu instid0(VALU_DEP_1) | instskip(NEXT) | instid1(VALU_DEP_1)
	v_fma_f64 v[16:17], -v[12:13], v[14:15], 1.0
	v_fmac_f64_e32 v[14:15], v[14:15], v[16:17]
	v_div_scale_f64 v[16:17], vcc_lo, v[2:3], v[10:11], v[2:3]
	s_delay_alu instid0(VALU_DEP_1) | instskip(NEXT) | instid1(VALU_DEP_1)
	v_mul_f64_e32 v[18:19], v[16:17], v[14:15]
	v_fma_f64 v[12:13], -v[12:13], v[18:19], v[16:17]
	s_delay_alu instid0(VALU_DEP_1) | instskip(NEXT) | instid1(VALU_DEP_1)
	v_div_fmas_f64 v[12:13], v[12:13], v[14:15], v[18:19]
	v_div_fixup_f64 v[2:3], v[12:13], v[10:11], v[2:3]
	ds_store_b64 v9, v[2:3] offset:12792
.LBB39_26:
	s_or_b32 exec_lo, exec_lo, s10
	v_lshlrev_b32_e32 v9, 6, v0
	s_wait_dscnt 0x0
	s_barrier_signal -1
	s_barrier_wait -1
	s_and_saveexec_b32 s9, s7
	s_cbranch_execz .LBB39_30
; %bb.27:
	v_dual_lshlrev_b32 v2, 9, v0 :: v_dual_lshlrev_b32 v10, 3, v9
	ds_load_b64 v[2:3], v2 offset:16632
	s_and_saveexec_b32 s7, s8
	s_cbranch_execz .LBB39_29
; %bb.28:
	ds_load_b64 v[12:13], v10 offset:248
	ds_load_b64 v[14:15], v10 offset:12280
	s_wait_dscnt 0x0
	v_fma_f64 v[2:3], -v[12:13], v[14:15], v[2:3]
.LBB39_29:
	s_or_b32 exec_lo, exec_lo, s7
	v_add_nc_u32_e32 v11, 0xf8, v10
	ds_load_b64 v[16:17], v10 offset:12792
	ds_load_2addr_stride64_b64 v[12:15], v11 offset0:8 offset1:16
	s_wait_dscnt 0x0
	v_fma_f64 v[2:3], -v[14:15], v[16:17], v[2:3]
	s_delay_alu instid0(VALU_DEP_1) | instskip(NEXT) | instid1(VALU_DEP_1)
	v_div_scale_f64 v[14:15], null, v[12:13], v[12:13], v[2:3]
	v_rcp_f64_e32 v[16:17], v[14:15]
	v_nop
	s_delay_alu instid0(TRANS32_DEP_1) | instskip(NEXT) | instid1(VALU_DEP_1)
	v_fma_f64 v[18:19], -v[14:15], v[16:17], 1.0
	v_fmac_f64_e32 v[16:17], v[16:17], v[18:19]
	s_delay_alu instid0(VALU_DEP_1) | instskip(NEXT) | instid1(VALU_DEP_1)
	v_fma_f64 v[18:19], -v[14:15], v[16:17], 1.0
	v_fmac_f64_e32 v[16:17], v[16:17], v[18:19]
	v_div_scale_f64 v[18:19], vcc_lo, v[2:3], v[12:13], v[2:3]
	s_delay_alu instid0(VALU_DEP_1) | instskip(NEXT) | instid1(VALU_DEP_1)
	v_mul_f64_e32 v[20:21], v[18:19], v[16:17]
	v_fma_f64 v[14:15], -v[14:15], v[20:21], v[18:19]
	s_delay_alu instid0(VALU_DEP_1) | instskip(NEXT) | instid1(VALU_DEP_1)
	v_div_fmas_f64 v[14:15], v[14:15], v[16:17], v[20:21]
	v_div_fixup_f64 v[2:3], v[14:15], v[12:13], v[2:3]
	ds_store_b64 v10, v[2:3] offset:12536
.LBB39_30:
	s_or_b32 exec_lo, exec_lo, s9
	v_lshlrev_b32_e32 v10, 5, v0
	s_wait_dscnt 0x0
	s_barrier_signal -1
	s_barrier_wait -1
	s_and_saveexec_b32 s7, s6
	s_cbranch_execz .LBB39_34
; %bb.31:
	ds_load_b64 v[2:3], v7 offset:16504
	v_lshlrev_b32_e32 v7, 3, v10
	s_and_saveexec_b32 s6, s8
	s_cbranch_execz .LBB39_33
; %bb.32:
	ds_load_b64 v[12:13], v7 offset:120
	ds_load_b64 v[14:15], v7 offset:12280
	s_wait_dscnt 0x0
	v_fma_f64 v[2:3], -v[12:13], v[14:15], v[2:3]
.LBB39_33:
	s_or_b32 exec_lo, exec_lo, s6
	s_delay_alu instid0(VALU_DEP_1) | instskip(SKIP_4) | instid1(VALU_DEP_1)
	v_add_nc_u32_e32 v11, 0x78, v7
	ds_load_b64 v[16:17], v7 offset:12536
	ds_load_2addr_stride64_b64 v[12:15], v11 offset0:8 offset1:16
	s_wait_dscnt 0x0
	v_fma_f64 v[2:3], -v[14:15], v[16:17], v[2:3]
	v_div_scale_f64 v[14:15], null, v[12:13], v[12:13], v[2:3]
	s_delay_alu instid0(VALU_DEP_1) | instskip(SKIP_1) | instid1(TRANS32_DEP_1)
	v_rcp_f64_e32 v[16:17], v[14:15]
	v_nop
	v_fma_f64 v[18:19], -v[14:15], v[16:17], 1.0
	s_delay_alu instid0(VALU_DEP_1) | instskip(NEXT) | instid1(VALU_DEP_1)
	v_fmac_f64_e32 v[16:17], v[16:17], v[18:19]
	v_fma_f64 v[18:19], -v[14:15], v[16:17], 1.0
	s_delay_alu instid0(VALU_DEP_1) | instskip(SKIP_1) | instid1(VALU_DEP_1)
	v_fmac_f64_e32 v[16:17], v[16:17], v[18:19]
	v_div_scale_f64 v[18:19], vcc_lo, v[2:3], v[12:13], v[2:3]
	v_mul_f64_e32 v[20:21], v[18:19], v[16:17]
	s_delay_alu instid0(VALU_DEP_1) | instskip(NEXT) | instid1(VALU_DEP_1)
	v_fma_f64 v[14:15], -v[14:15], v[20:21], v[18:19]
	v_div_fmas_f64 v[14:15], v[14:15], v[16:17], v[20:21]
	s_delay_alu instid0(VALU_DEP_1)
	v_div_fixup_f64 v[2:3], v[14:15], v[12:13], v[2:3]
	ds_store_b64 v7, v[2:3] offset:12408
.LBB39_34:
	s_or_b32 exec_lo, exec_lo, s7
	v_lshlrev_b32_e32 v7, 4, v0
	s_wait_dscnt 0x0
	s_barrier_signal -1
	s_barrier_wait -1
	s_and_saveexec_b32 s6, s5
	s_cbranch_execz .LBB39_38
; %bb.35:
	ds_load_b64 v[2:3], v8 offset:16440
	v_lshlrev_b32_e32 v8, 3, v7
	s_and_saveexec_b32 s5, s8
	s_cbranch_execz .LBB39_37
; %bb.36:
	ds_load_b64 v[12:13], v8 offset:56
	ds_load_b64 v[14:15], v8 offset:12280
	s_wait_dscnt 0x0
	v_fma_f64 v[2:3], -v[12:13], v[14:15], v[2:3]
.LBB39_37:
	s_or_b32 exec_lo, exec_lo, s5
	s_delay_alu instid0(VALU_DEP_1) | instskip(SKIP_4) | instid1(VALU_DEP_1)
	v_add_nc_u32_e32 v11, 56, v8
	ds_load_b64 v[16:17], v8 offset:12408
	ds_load_2addr_stride64_b64 v[12:15], v11 offset0:8 offset1:16
	s_wait_dscnt 0x0
	v_fma_f64 v[2:3], -v[14:15], v[16:17], v[2:3]
	v_div_scale_f64 v[14:15], null, v[12:13], v[12:13], v[2:3]
	s_delay_alu instid0(VALU_DEP_1) | instskip(SKIP_1) | instid1(TRANS32_DEP_1)
	v_rcp_f64_e32 v[16:17], v[14:15]
	v_nop
	v_fma_f64 v[18:19], -v[14:15], v[16:17], 1.0
	s_delay_alu instid0(VALU_DEP_1) | instskip(NEXT) | instid1(VALU_DEP_1)
	v_fmac_f64_e32 v[16:17], v[16:17], v[18:19]
	v_fma_f64 v[18:19], -v[14:15], v[16:17], 1.0
	s_delay_alu instid0(VALU_DEP_1) | instskip(SKIP_1) | instid1(VALU_DEP_1)
	v_fmac_f64_e32 v[16:17], v[16:17], v[18:19]
	v_div_scale_f64 v[18:19], vcc_lo, v[2:3], v[12:13], v[2:3]
	v_mul_f64_e32 v[20:21], v[18:19], v[16:17]
	s_delay_alu instid0(VALU_DEP_1) | instskip(NEXT) | instid1(VALU_DEP_1)
	v_fma_f64 v[14:15], -v[14:15], v[20:21], v[18:19]
	v_div_fmas_f64 v[14:15], v[14:15], v[16:17], v[20:21]
	s_delay_alu instid0(VALU_DEP_1)
	v_div_fixup_f64 v[2:3], v[14:15], v[12:13], v[2:3]
	ds_store_b64 v8, v[2:3] offset:12344
.LBB39_38:
	s_or_b32 exec_lo, exec_lo, s6
	s_wait_dscnt 0x0
	s_barrier_signal -1
	s_barrier_wait -1
	s_and_saveexec_b32 s5, s4
	s_cbranch_execz .LBB39_42
; %bb.39:
	ds_load_b64 v[2:3], v9 offset:16408
	v_lshlrev_b32_e32 v5, 3, v5
	s_and_saveexec_b32 s4, s8
	s_cbranch_execz .LBB39_41
; %bb.40:
	ds_load_b64 v[8:9], v5 offset:24
	ds_load_b64 v[12:13], v5 offset:12280
	s_wait_dscnt 0x0
	v_fma_f64 v[2:3], -v[8:9], v[12:13], v[2:3]
.LBB39_41:
	s_or_b32 exec_lo, exec_lo, s4
	s_delay_alu instid0(VALU_DEP_1) | instskip(SKIP_4) | instid1(VALU_DEP_1)
	v_add_nc_u32_e32 v11, 24, v5
	ds_load_b64 v[8:9], v5 offset:12344
	ds_load_2addr_stride64_b64 v[12:15], v11 offset0:8 offset1:16
	s_wait_dscnt 0x0
	v_fma_f64 v[2:3], -v[14:15], v[8:9], v[2:3]
	v_div_scale_f64 v[8:9], null, v[12:13], v[12:13], v[2:3]
	s_delay_alu instid0(VALU_DEP_1) | instskip(SKIP_1) | instid1(TRANS32_DEP_1)
	v_rcp_f64_e32 v[14:15], v[8:9]
	v_nop
	v_fma_f64 v[16:17], -v[8:9], v[14:15], 1.0
	s_delay_alu instid0(VALU_DEP_1) | instskip(NEXT) | instid1(VALU_DEP_1)
	v_fmac_f64_e32 v[14:15], v[14:15], v[16:17]
	v_fma_f64 v[16:17], -v[8:9], v[14:15], 1.0
	s_delay_alu instid0(VALU_DEP_1) | instskip(SKIP_1) | instid1(VALU_DEP_1)
	v_fmac_f64_e32 v[14:15], v[14:15], v[16:17]
	v_div_scale_f64 v[16:17], vcc_lo, v[2:3], v[12:13], v[2:3]
	v_mul_f64_e32 v[18:19], v[16:17], v[14:15]
	s_delay_alu instid0(VALU_DEP_1) | instskip(NEXT) | instid1(VALU_DEP_1)
	v_fma_f64 v[8:9], -v[8:9], v[18:19], v[16:17]
	v_div_fmas_f64 v[8:9], v[8:9], v[14:15], v[18:19]
	s_delay_alu instid0(VALU_DEP_1)
	v_div_fixup_f64 v[2:3], v[8:9], v[12:13], v[2:3]
	ds_store_b64 v5, v[2:3] offset:12312
.LBB39_42:
	s_or_b32 exec_lo, exec_lo, s5
	s_wait_dscnt 0x0
	s_barrier_signal -1
	s_barrier_wait -1
	s_and_saveexec_b32 s4, s3
	s_cbranch_execz .LBB39_46
; %bb.43:
	ds_load_b64 v[2:3], v10 offset:16392
	v_lshlrev_b32_e32 v5, 2, v0
	s_delay_alu instid0(VALU_DEP_1)
	v_lshlrev_b32_e32 v5, 3, v5
	s_and_saveexec_b32 s3, s8
	s_cbranch_execz .LBB39_45
; %bb.44:
	ds_load_b64 v[8:9], v5 offset:8
	ds_load_b64 v[10:11], v5 offset:12280
	s_wait_dscnt 0x0
	v_fma_f64 v[2:3], -v[8:9], v[10:11], v[2:3]
.LBB39_45:
	s_or_b32 exec_lo, exec_lo, s3
	s_delay_alu instid0(VALU_DEP_1) | instskip(SKIP_4) | instid1(VALU_DEP_1)
	v_add_nc_u32_e32 v8, 8, v5
	ds_load_b64 v[12:13], v5 offset:12312
	ds_load_2addr_stride64_b64 v[8:11], v8 offset0:8 offset1:16
	s_wait_dscnt 0x0
	v_fma_f64 v[2:3], -v[10:11], v[12:13], v[2:3]
	v_div_scale_f64 v[10:11], null, v[8:9], v[8:9], v[2:3]
	s_delay_alu instid0(VALU_DEP_1) | instskip(SKIP_1) | instid1(TRANS32_DEP_1)
	v_rcp_f64_e32 v[12:13], v[10:11]
	v_nop
	v_fma_f64 v[14:15], -v[10:11], v[12:13], 1.0
	s_delay_alu instid0(VALU_DEP_1) | instskip(NEXT) | instid1(VALU_DEP_1)
	v_fmac_f64_e32 v[12:13], v[12:13], v[14:15]
	v_fma_f64 v[14:15], -v[10:11], v[12:13], 1.0
	s_delay_alu instid0(VALU_DEP_1) | instskip(SKIP_1) | instid1(VALU_DEP_1)
	v_fmac_f64_e32 v[12:13], v[12:13], v[14:15]
	v_div_scale_f64 v[14:15], vcc_lo, v[2:3], v[8:9], v[2:3]
	v_mul_f64_e32 v[16:17], v[14:15], v[12:13]
	s_delay_alu instid0(VALU_DEP_1) | instskip(NEXT) | instid1(VALU_DEP_1)
	v_fma_f64 v[10:11], -v[10:11], v[16:17], v[14:15]
	v_div_fmas_f64 v[10:11], v[10:11], v[12:13], v[16:17]
	s_delay_alu instid0(VALU_DEP_1)
	v_div_fixup_f64 v[2:3], v[10:11], v[8:9], v[2:3]
	ds_store_b64 v5, v[2:3] offset:12296
.LBB39_46:
	s_or_b32 exec_lo, exec_lo, s4
	s_wait_dscnt 0x0
	s_barrier_signal -1
	s_barrier_wait -1
	s_and_saveexec_b32 s3, s2
	s_cbranch_execz .LBB39_50
; %bb.47:
	ds_load_b64 v[2:3], v7 offset:16384
	v_lshlrev_b32_e32 v0, 1, v0
	s_delay_alu instid0(VALU_DEP_1)
	v_lshlrev_b32_e32 v0, 3, v0
	s_and_saveexec_b32 s2, s8
	s_cbranch_execz .LBB39_49
; %bb.48:
	ds_load_b64 v[8:9], v0
	ds_load_b64 v[10:11], v0 offset:12280
	s_wait_dscnt 0x0
	v_fma_f64 v[2:3], -v[8:9], v[10:11], v[2:3]
.LBB39_49:
	s_or_b32 exec_lo, exec_lo, s2
	ds_load_2addr_stride64_b64 v[8:11], v0 offset0:8 offset1:16
	ds_load_b64 v[12:13], v0 offset:12296
	s_wait_dscnt 0x0
	v_fma_f64 v[2:3], -v[10:11], v[12:13], v[2:3]
	s_delay_alu instid0(VALU_DEP_1) | instskip(NEXT) | instid1(VALU_DEP_1)
	v_div_scale_f64 v[10:11], null, v[8:9], v[8:9], v[2:3]
	v_rcp_f64_e32 v[12:13], v[10:11]
	v_nop
	s_delay_alu instid0(TRANS32_DEP_1) | instskip(NEXT) | instid1(VALU_DEP_1)
	v_fma_f64 v[14:15], -v[10:11], v[12:13], 1.0
	v_fmac_f64_e32 v[12:13], v[12:13], v[14:15]
	s_delay_alu instid0(VALU_DEP_1) | instskip(NEXT) | instid1(VALU_DEP_1)
	v_fma_f64 v[14:15], -v[10:11], v[12:13], 1.0
	v_fmac_f64_e32 v[12:13], v[12:13], v[14:15]
	v_div_scale_f64 v[14:15], vcc_lo, v[2:3], v[8:9], v[2:3]
	s_delay_alu instid0(VALU_DEP_1) | instskip(NEXT) | instid1(VALU_DEP_1)
	v_mul_f64_e32 v[16:17], v[14:15], v[12:13]
	v_fma_f64 v[10:11], -v[10:11], v[16:17], v[14:15]
	s_delay_alu instid0(VALU_DEP_1) | instskip(NEXT) | instid1(VALU_DEP_1)
	v_div_fmas_f64 v[10:11], v[10:11], v[12:13], v[16:17]
	v_div_fixup_f64 v[2:3], v[10:11], v[8:9], v[2:3]
	ds_store_b64 v0, v[2:3] offset:12288
.LBB39_50:
	s_or_b32 exec_lo, exec_lo, s3
	s_wait_xcnt 0x0
	s_load_b32 s0, s[0:1], 0x8
	s_wait_dscnt 0x0
	s_barrier_signal -1
	s_barrier_wait -1
	ds_load_2addr_stride64_b64 v[6:9], v6 offset1:4
	s_wait_kmcnt 0x0
	s_mul_i32 s0, s0, s11
	s_delay_alu instid0(SALU_CYCLE_1)
	v_dual_add_nc_u32 v0, s0, v1 :: v_dual_add_nc_u32 v1, s0, v4
	s_wait_dscnt 0x0
	s_clause 0x1
	global_store_b64 v0, v[6:7], s[12:13] scale_offset
	global_store_b64 v1, v[8:9], s[12:13] scale_offset
	s_endpgm
	.section	.rodata,"a",@progbits
	.p2align	6, 0x0
	.amdhsa_kernel _ZN9rocsparseL48gtsv_nopivot_strided_batch_cr_pow2_stage2_kernelILj256EdEEviiiPKT0_S3_S3_S3_PS1_
		.amdhsa_group_segment_fixed_size 20480
		.amdhsa_private_segment_fixed_size 0
		.amdhsa_kernarg_size 312
		.amdhsa_user_sgpr_count 2
		.amdhsa_user_sgpr_dispatch_ptr 0
		.amdhsa_user_sgpr_queue_ptr 0
		.amdhsa_user_sgpr_kernarg_segment_ptr 1
		.amdhsa_user_sgpr_dispatch_id 0
		.amdhsa_user_sgpr_kernarg_preload_length 0
		.amdhsa_user_sgpr_kernarg_preload_offset 0
		.amdhsa_user_sgpr_private_segment_size 0
		.amdhsa_wavefront_size32 1
		.amdhsa_uses_dynamic_stack 0
		.amdhsa_enable_private_segment 0
		.amdhsa_system_sgpr_workgroup_id_x 1
		.amdhsa_system_sgpr_workgroup_id_y 1
		.amdhsa_system_sgpr_workgroup_id_z 0
		.amdhsa_system_sgpr_workgroup_info 0
		.amdhsa_system_vgpr_workitem_id 0
		.amdhsa_next_free_vgpr 43
		.amdhsa_next_free_sgpr 20
		.amdhsa_named_barrier_count 0
		.amdhsa_reserve_vcc 1
		.amdhsa_float_round_mode_32 0
		.amdhsa_float_round_mode_16_64 0
		.amdhsa_float_denorm_mode_32 3
		.amdhsa_float_denorm_mode_16_64 3
		.amdhsa_fp16_overflow 0
		.amdhsa_memory_ordered 1
		.amdhsa_forward_progress 1
		.amdhsa_inst_pref_size 46
		.amdhsa_round_robin_scheduling 0
		.amdhsa_exception_fp_ieee_invalid_op 0
		.amdhsa_exception_fp_denorm_src 0
		.amdhsa_exception_fp_ieee_div_zero 0
		.amdhsa_exception_fp_ieee_overflow 0
		.amdhsa_exception_fp_ieee_underflow 0
		.amdhsa_exception_fp_ieee_inexact 0
		.amdhsa_exception_int_div_zero 0
	.end_amdhsa_kernel
	.section	.text._ZN9rocsparseL48gtsv_nopivot_strided_batch_cr_pow2_stage2_kernelILj256EdEEviiiPKT0_S3_S3_S3_PS1_,"axG",@progbits,_ZN9rocsparseL48gtsv_nopivot_strided_batch_cr_pow2_stage2_kernelILj256EdEEviiiPKT0_S3_S3_S3_PS1_,comdat
.Lfunc_end39:
	.size	_ZN9rocsparseL48gtsv_nopivot_strided_batch_cr_pow2_stage2_kernelILj256EdEEviiiPKT0_S3_S3_S3_PS1_, .Lfunc_end39-_ZN9rocsparseL48gtsv_nopivot_strided_batch_cr_pow2_stage2_kernelILj256EdEEviiiPKT0_S3_S3_S3_PS1_
                                        ; -- End function
	.set _ZN9rocsparseL48gtsv_nopivot_strided_batch_cr_pow2_stage2_kernelILj256EdEEviiiPKT0_S3_S3_S3_PS1_.num_vgpr, 43
	.set _ZN9rocsparseL48gtsv_nopivot_strided_batch_cr_pow2_stage2_kernelILj256EdEEviiiPKT0_S3_S3_S3_PS1_.num_agpr, 0
	.set _ZN9rocsparseL48gtsv_nopivot_strided_batch_cr_pow2_stage2_kernelILj256EdEEviiiPKT0_S3_S3_S3_PS1_.numbered_sgpr, 20
	.set _ZN9rocsparseL48gtsv_nopivot_strided_batch_cr_pow2_stage2_kernelILj256EdEEviiiPKT0_S3_S3_S3_PS1_.num_named_barrier, 0
	.set _ZN9rocsparseL48gtsv_nopivot_strided_batch_cr_pow2_stage2_kernelILj256EdEEviiiPKT0_S3_S3_S3_PS1_.private_seg_size, 0
	.set _ZN9rocsparseL48gtsv_nopivot_strided_batch_cr_pow2_stage2_kernelILj256EdEEviiiPKT0_S3_S3_S3_PS1_.uses_vcc, 1
	.set _ZN9rocsparseL48gtsv_nopivot_strided_batch_cr_pow2_stage2_kernelILj256EdEEviiiPKT0_S3_S3_S3_PS1_.uses_flat_scratch, 0
	.set _ZN9rocsparseL48gtsv_nopivot_strided_batch_cr_pow2_stage2_kernelILj256EdEEviiiPKT0_S3_S3_S3_PS1_.has_dyn_sized_stack, 0
	.set _ZN9rocsparseL48gtsv_nopivot_strided_batch_cr_pow2_stage2_kernelILj256EdEEviiiPKT0_S3_S3_S3_PS1_.has_recursion, 0
	.set _ZN9rocsparseL48gtsv_nopivot_strided_batch_cr_pow2_stage2_kernelILj256EdEEviiiPKT0_S3_S3_S3_PS1_.has_indirect_call, 0
	.section	.AMDGPU.csdata,"",@progbits
; Kernel info:
; codeLenInByte = 5844
; TotalNumSgprs: 22
; NumVgprs: 43
; ScratchSize: 0
; MemoryBound: 0
; FloatMode: 240
; IeeeMode: 1
; LDSByteSize: 20480 bytes/workgroup (compile time only)
; SGPRBlocks: 0
; VGPRBlocks: 2
; NumSGPRsForWavesPerEU: 22
; NumVGPRsForWavesPerEU: 43
; NamedBarCnt: 0
; Occupancy: 16
; WaveLimiterHint : 0
; COMPUTE_PGM_RSRC2:SCRATCH_EN: 0
; COMPUTE_PGM_RSRC2:USER_SGPR: 2
; COMPUTE_PGM_RSRC2:TRAP_HANDLER: 0
; COMPUTE_PGM_RSRC2:TGID_X_EN: 1
; COMPUTE_PGM_RSRC2:TGID_Y_EN: 1
; COMPUTE_PGM_RSRC2:TGID_Z_EN: 0
; COMPUTE_PGM_RSRC2:TIDIG_COMP_CNT: 0
	.section	.text._ZN9rocsparseL44gtsv_nopivot_strided_batch_pcr_stage1_kernelILj256EdEEviiiiPKT0_S3_S3_S3_PS1_S4_S4_S4_,"axG",@progbits,_ZN9rocsparseL44gtsv_nopivot_strided_batch_pcr_stage1_kernelILj256EdEEviiiiPKT0_S3_S3_S3_PS1_S4_S4_S4_,comdat
	.globl	_ZN9rocsparseL44gtsv_nopivot_strided_batch_pcr_stage1_kernelILj256EdEEviiiiPKT0_S3_S3_S3_PS1_S4_S4_S4_ ; -- Begin function _ZN9rocsparseL44gtsv_nopivot_strided_batch_pcr_stage1_kernelILj256EdEEviiiiPKT0_S3_S3_S3_PS1_S4_S4_S4_
	.p2align	8
	.type	_ZN9rocsparseL44gtsv_nopivot_strided_batch_pcr_stage1_kernelILj256EdEEviiiiPKT0_S3_S3_S3_PS1_S4_S4_S4_,@function
_ZN9rocsparseL44gtsv_nopivot_strided_batch_pcr_stage1_kernelILj256EdEEviiiiPKT0_S3_S3_S3_PS1_S4_S4_S4_: ; @_ZN9rocsparseL44gtsv_nopivot_strided_batch_pcr_stage1_kernelILj256EdEEviiiiPKT0_S3_S3_S3_PS1_S4_S4_S4_
; %bb.0:
	s_load_b64 s[2:3], s[0:1], 0x0
	s_bfe_u32 s4, ttmp6, 0x4000c
	s_and_b32 s5, ttmp6, 15
	s_add_co_i32 s4, s4, 1
	s_getreg_b32 s12, hwreg(HW_REG_IB_STS2, 6, 4)
	s_mul_i32 s4, ttmp9, s4
	s_delay_alu instid0(SALU_CYCLE_1) | instskip(SKIP_2) | instid1(SALU_CYCLE_1)
	s_add_co_i32 s5, s5, s4
	s_cmp_eq_u32 s12, 0
	s_cselect_b32 s4, ttmp9, s5
	v_lshl_or_b32 v0, s4, 8, v0
	s_mov_b32 s4, exec_lo
	s_wait_kmcnt 0x0
	s_delay_alu instid0(VALU_DEP_1)
	v_cmpx_gt_i32_e64 s3, v0
	s_cbranch_execz .LBB40_2
; %bb.1:
	s_clause 0x1
	s_load_b32 s13, s[0:1], 0xc
	s_load_b256 s[4:11], s[0:1], 0x10
	s_bfe_u32 s14, ttmp6, 0x40010
	s_bfe_u32 s15, ttmp6, 0x40004
	s_add_co_i32 s14, s14, 1
	v_subrev_nc_u32_e32 v1, s2, v0
	s_mul_i32 s14, ttmp7, s14
	s_delay_alu instid0(SALU_CYCLE_1) | instskip(SKIP_1) | instid1(VALU_DEP_1)
	s_add_co_i32 s15, s15, s14
	s_cmp_eq_u32 s12, 0
	v_max_i32_e32 v1, 0, v1
	s_cselect_b32 s14, ttmp7, s15
	s_add_co_i32 s15, s3, -1
	s_delay_alu instid0(SALU_CYCLE_1) | instskip(SKIP_2) | instid1(SALU_CYCLE_1)
	v_add_min_i32_e64 v30, v0, s2, s15
	s_wait_kmcnt 0x0
	s_mul_i32 s12, s13, s14
	s_ashr_i32 s13, s12, 31
	s_delay_alu instid0(SALU_CYCLE_1) | instskip(NEXT) | instid1(SALU_CYCLE_1)
	s_lshl_b64 s[12:13], s[12:13], 3
	s_add_nc_u64 s[4:5], s[4:5], s[12:13]
	s_add_nc_u64 s[6:7], s[6:7], s[12:13]
	global_load_b64 v[2:3], v0, s[4:5] scale_offset
	global_load_b64 v[4:5], v1, s[6:7] scale_offset
	s_add_nc_u64 s[8:9], s[8:9], s[12:13]
	global_load_b64 v[6:7], v0, s[8:9] scale_offset
	global_load_b64 v[8:9], v30, s[6:7] scale_offset
	s_add_nc_u64 s[10:11], s[10:11], s[12:13]
	s_clause 0x1
	global_load_b64 v[10:11], v0, s[10:11] scale_offset
	global_load_b64 v[12:13], v0, s[6:7] scale_offset
	s_clause 0x1
	global_load_b64 v[14:15], v1, s[8:9] scale_offset
	global_load_b64 v[16:17], v1, s[4:5] scale_offset
	s_wait_loadcnt 0x6
	v_div_scale_f64 v[18:19], null, v[4:5], v[4:5], v[2:3]
	v_div_scale_f64 v[38:39], vcc_lo, v[2:3], v[4:5], v[2:3]
	s_wait_loadcnt 0x4
	v_div_scale_f64 v[26:27], null, v[8:9], v[8:9], v[6:7]
	s_delay_alu instid0(VALU_DEP_3) | instskip(NEXT) | instid1(VALU_DEP_1)
	v_rcp_f64_e32 v[28:29], v[18:19]
	v_rcp_f64_e32 v[32:33], v[26:27]
	s_delay_alu instid0(TRANS32_DEP_2) | instskip(NEXT) | instid1(TRANS32_DEP_1)
	v_fma_f64 v[34:35], -v[18:19], v[28:29], 1.0
	v_fma_f64 v[36:37], -v[26:27], v[32:33], 1.0
	s_delay_alu instid0(VALU_DEP_2) | instskip(NEXT) | instid1(VALU_DEP_2)
	v_fmac_f64_e32 v[28:29], v[28:29], v[34:35]
	v_fmac_f64_e32 v[32:33], v[32:33], v[36:37]
	s_delay_alu instid0(VALU_DEP_2) | instskip(NEXT) | instid1(VALU_DEP_2)
	v_fma_f64 v[34:35], -v[18:19], v[28:29], 1.0
	v_fma_f64 v[36:37], -v[26:27], v[32:33], 1.0
	s_delay_alu instid0(VALU_DEP_2) | instskip(SKIP_1) | instid1(VALU_DEP_3)
	v_fmac_f64_e32 v[28:29], v[28:29], v[34:35]
	v_div_scale_f64 v[34:35], s2, v[6:7], v[8:9], v[6:7]
	v_fmac_f64_e32 v[32:33], v[32:33], v[36:37]
	s_delay_alu instid0(VALU_DEP_3) | instskip(NEXT) | instid1(VALU_DEP_2)
	v_mul_f64_e32 v[36:37], v[38:39], v[28:29]
	v_mul_f64_e32 v[40:41], v[34:35], v[32:33]
	s_delay_alu instid0(VALU_DEP_2) | instskip(NEXT) | instid1(VALU_DEP_2)
	v_fma_f64 v[18:19], -v[18:19], v[36:37], v[38:39]
	v_fma_f64 v[26:27], -v[26:27], v[40:41], v[34:35]
	s_delay_alu instid0(VALU_DEP_2) | instskip(SKIP_1) | instid1(VALU_DEP_2)
	v_div_fmas_f64 v[18:19], v[18:19], v[28:29], v[36:37]
	s_mov_b32 vcc_lo, s2
	v_div_fmas_f64 v[26:27], v[26:27], v[32:33], v[40:41]
	s_delay_alu instid0(VALU_DEP_2) | instskip(NEXT) | instid1(VALU_DEP_2)
	v_div_fixup_f64 v[2:3], v[18:19], v[4:5], v[2:3]
	v_div_fixup_f64 v[4:5], v[26:27], v[8:9], v[6:7]
	s_wait_loadcnt 0x1
	s_delay_alu instid0(VALU_DEP_2)
	v_fma_f64 v[6:7], -v[2:3], v[14:15], v[12:13]
	global_load_b64 v[20:21], v1, s[10:11] scale_offset
	s_clause 0x2
	global_load_b64 v[22:23], v30, s[8:9] scale_offset
	global_load_b64 v[24:25], v30, s[4:5] scale_offset
	;; [unrolled: 1-line block ×3, first 2 shown]
	s_wait_xcnt 0x0
	s_load_b256 s[4:11], s[0:1], 0x30
	s_wait_xcnt 0x0
	s_mul_i32 s0, s3, s14
	s_delay_alu instid0(SALU_CYCLE_1) | instskip(NEXT) | instid1(SALU_CYCLE_1)
	s_ashr_i32 s1, s0, 31
	s_lshl_b64 s[0:1], s[0:1], 3
	s_wait_kmcnt 0x0
	s_add_nc_u64 s[2:3], s[4:5], s[0:1]
	s_add_nc_u64 s[4:5], s[6:7], s[0:1]
	;; [unrolled: 1-line block ×4, first 2 shown]
	s_wait_loadcnt 0x3
	v_fma_f64 v[8:9], -v[2:3], v[20:21], v[10:11]
	v_mul_f64_e64 v[2:3], v[2:3], -v[16:17]
	s_wait_loadcnt 0x1
	v_fma_f64 v[6:7], -v[4:5], v[24:25], v[6:7]
	s_wait_loadcnt 0x0
	s_delay_alu instid0(VALU_DEP_3)
	v_fma_f64 v[8:9], -v[30:31], v[4:5], v[8:9]
	v_mul_f64_e64 v[4:5], v[4:5], -v[22:23]
	s_clause 0x3
	global_store_b64 v0, v[6:7], s[4:5] scale_offset
	global_store_b64 v0, v[8:9], s[0:1] scale_offset
	;; [unrolled: 1-line block ×4, first 2 shown]
.LBB40_2:
	s_endpgm
	.section	.rodata,"a",@progbits
	.p2align	6, 0x0
	.amdhsa_kernel _ZN9rocsparseL44gtsv_nopivot_strided_batch_pcr_stage1_kernelILj256EdEEviiiiPKT0_S3_S3_S3_PS1_S4_S4_S4_
		.amdhsa_group_segment_fixed_size 0
		.amdhsa_private_segment_fixed_size 0
		.amdhsa_kernarg_size 80
		.amdhsa_user_sgpr_count 2
		.amdhsa_user_sgpr_dispatch_ptr 0
		.amdhsa_user_sgpr_queue_ptr 0
		.amdhsa_user_sgpr_kernarg_segment_ptr 1
		.amdhsa_user_sgpr_dispatch_id 0
		.amdhsa_user_sgpr_kernarg_preload_length 0
		.amdhsa_user_sgpr_kernarg_preload_offset 0
		.amdhsa_user_sgpr_private_segment_size 0
		.amdhsa_wavefront_size32 1
		.amdhsa_uses_dynamic_stack 0
		.amdhsa_enable_private_segment 0
		.amdhsa_system_sgpr_workgroup_id_x 1
		.amdhsa_system_sgpr_workgroup_id_y 1
		.amdhsa_system_sgpr_workgroup_id_z 0
		.amdhsa_system_sgpr_workgroup_info 0
		.amdhsa_system_vgpr_workitem_id 0
		.amdhsa_next_free_vgpr 42
		.amdhsa_next_free_sgpr 16
		.amdhsa_named_barrier_count 0
		.amdhsa_reserve_vcc 1
		.amdhsa_float_round_mode_32 0
		.amdhsa_float_round_mode_16_64 0
		.amdhsa_float_denorm_mode_32 3
		.amdhsa_float_denorm_mode_16_64 3
		.amdhsa_fp16_overflow 0
		.amdhsa_memory_ordered 1
		.amdhsa_forward_progress 1
		.amdhsa_inst_pref_size 6
		.amdhsa_round_robin_scheduling 0
		.amdhsa_exception_fp_ieee_invalid_op 0
		.amdhsa_exception_fp_denorm_src 0
		.amdhsa_exception_fp_ieee_div_zero 0
		.amdhsa_exception_fp_ieee_overflow 0
		.amdhsa_exception_fp_ieee_underflow 0
		.amdhsa_exception_fp_ieee_inexact 0
		.amdhsa_exception_int_div_zero 0
	.end_amdhsa_kernel
	.section	.text._ZN9rocsparseL44gtsv_nopivot_strided_batch_pcr_stage1_kernelILj256EdEEviiiiPKT0_S3_S3_S3_PS1_S4_S4_S4_,"axG",@progbits,_ZN9rocsparseL44gtsv_nopivot_strided_batch_pcr_stage1_kernelILj256EdEEviiiiPKT0_S3_S3_S3_PS1_S4_S4_S4_,comdat
.Lfunc_end40:
	.size	_ZN9rocsparseL44gtsv_nopivot_strided_batch_pcr_stage1_kernelILj256EdEEviiiiPKT0_S3_S3_S3_PS1_S4_S4_S4_, .Lfunc_end40-_ZN9rocsparseL44gtsv_nopivot_strided_batch_pcr_stage1_kernelILj256EdEEviiiiPKT0_S3_S3_S3_PS1_S4_S4_S4_
                                        ; -- End function
	.set _ZN9rocsparseL44gtsv_nopivot_strided_batch_pcr_stage1_kernelILj256EdEEviiiiPKT0_S3_S3_S3_PS1_S4_S4_S4_.num_vgpr, 42
	.set _ZN9rocsparseL44gtsv_nopivot_strided_batch_pcr_stage1_kernelILj256EdEEviiiiPKT0_S3_S3_S3_PS1_S4_S4_S4_.num_agpr, 0
	.set _ZN9rocsparseL44gtsv_nopivot_strided_batch_pcr_stage1_kernelILj256EdEEviiiiPKT0_S3_S3_S3_PS1_S4_S4_S4_.numbered_sgpr, 16
	.set _ZN9rocsparseL44gtsv_nopivot_strided_batch_pcr_stage1_kernelILj256EdEEviiiiPKT0_S3_S3_S3_PS1_S4_S4_S4_.num_named_barrier, 0
	.set _ZN9rocsparseL44gtsv_nopivot_strided_batch_pcr_stage1_kernelILj256EdEEviiiiPKT0_S3_S3_S3_PS1_S4_S4_S4_.private_seg_size, 0
	.set _ZN9rocsparseL44gtsv_nopivot_strided_batch_pcr_stage1_kernelILj256EdEEviiiiPKT0_S3_S3_S3_PS1_S4_S4_S4_.uses_vcc, 1
	.set _ZN9rocsparseL44gtsv_nopivot_strided_batch_pcr_stage1_kernelILj256EdEEviiiiPKT0_S3_S3_S3_PS1_S4_S4_S4_.uses_flat_scratch, 0
	.set _ZN9rocsparseL44gtsv_nopivot_strided_batch_pcr_stage1_kernelILj256EdEEviiiiPKT0_S3_S3_S3_PS1_S4_S4_S4_.has_dyn_sized_stack, 0
	.set _ZN9rocsparseL44gtsv_nopivot_strided_batch_pcr_stage1_kernelILj256EdEEviiiiPKT0_S3_S3_S3_PS1_S4_S4_S4_.has_recursion, 0
	.set _ZN9rocsparseL44gtsv_nopivot_strided_batch_pcr_stage1_kernelILj256EdEEviiiiPKT0_S3_S3_S3_PS1_S4_S4_S4_.has_indirect_call, 0
	.section	.AMDGPU.csdata,"",@progbits
; Kernel info:
; codeLenInByte = 728
; TotalNumSgprs: 18
; NumVgprs: 42
; ScratchSize: 0
; MemoryBound: 0
; FloatMode: 240
; IeeeMode: 1
; LDSByteSize: 0 bytes/workgroup (compile time only)
; SGPRBlocks: 0
; VGPRBlocks: 2
; NumSGPRsForWavesPerEU: 18
; NumVGPRsForWavesPerEU: 42
; NamedBarCnt: 0
; Occupancy: 16
; WaveLimiterHint : 0
; COMPUTE_PGM_RSRC2:SCRATCH_EN: 0
; COMPUTE_PGM_RSRC2:USER_SGPR: 2
; COMPUTE_PGM_RSRC2:TRAP_HANDLER: 0
; COMPUTE_PGM_RSRC2:TGID_X_EN: 1
; COMPUTE_PGM_RSRC2:TGID_Y_EN: 1
; COMPUTE_PGM_RSRC2:TGID_Z_EN: 0
; COMPUTE_PGM_RSRC2:TIDIG_COMP_CNT: 0
	.section	.text._ZN9rocsparseL44gtsv_nopivot_strided_batch_pcr_stage2_kernelILj512EdEEviiiPKT0_S3_S3_S3_PS1_,"axG",@progbits,_ZN9rocsparseL44gtsv_nopivot_strided_batch_pcr_stage2_kernelILj512EdEEviiiPKT0_S3_S3_S3_PS1_,comdat
	.globl	_ZN9rocsparseL44gtsv_nopivot_strided_batch_pcr_stage2_kernelILj512EdEEviiiPKT0_S3_S3_S3_PS1_ ; -- Begin function _ZN9rocsparseL44gtsv_nopivot_strided_batch_pcr_stage2_kernelILj512EdEEviiiPKT0_S3_S3_S3_PS1_
	.p2align	8
	.type	_ZN9rocsparseL44gtsv_nopivot_strided_batch_pcr_stage2_kernelILj512EdEEviiiPKT0_S3_S3_S3_PS1_,@function
_ZN9rocsparseL44gtsv_nopivot_strided_batch_pcr_stage2_kernelILj512EdEEviiiPKT0_S3_S3_S3_PS1_: ; @_ZN9rocsparseL44gtsv_nopivot_strided_batch_pcr_stage2_kernelILj512EdEEviiiPKT0_S3_S3_S3_PS1_
; %bb.0:
	s_clause 0x1
	s_load_b32 s2, s[0:1], 0x38
	s_load_b32 s16, s[0:1], 0x0
	s_bfe_u32 s4, ttmp6, 0x4000c
	s_bfe_u32 s5, ttmp6, 0x40010
	s_add_co_i32 s4, s4, 1
	s_add_co_i32 s5, s5, 1
	s_and_b32 s3, ttmp6, 15
	s_bfe_u32 s6, ttmp6, 0x40004
	s_mul_i32 s4, ttmp9, s4
	s_mul_i32 s5, ttmp7, s5
	s_getreg_b32 s7, hwreg(HW_REG_IB_STS2, 6, 4)
	s_add_co_i32 s3, s3, s4
	s_add_co_i32 s6, s6, s5
	s_cmp_eq_u32 s7, 0
	s_load_b256 s[8:15], s[0:1], 0x10
	s_cselect_b32 s3, ttmp9, s3
	s_cselect_b32 s4, ttmp7, s6
	v_sub_nc_u32_e64 v3, v0, 1 clamp
	v_min_u32_e32 v12, 0x1fe, v0
	s_wait_kmcnt 0x0
	v_mad_u32 v1, s2, v0, s3
	s_mul_i32 s5, s16, s4
	s_add_co_i32 s3, s16, s3
	v_lshlrev_b32_e32 v3, 3, v3
	s_add_co_i32 s3, s3, s5
	v_lshlrev_b32_e32 v12, 3, v12
	s_sub_co_i32 s3, s3, s2
	s_delay_alu instid0(VALU_DEP_3) | instskip(SKIP_1) | instid1(VALU_DEP_1)
	v_add_nc_u32_e32 v2, s5, v1
	v_cmp_gt_i32_e64 s2, s16, v1
	v_cndmask_b32_e64 v2, s3, v2, s2
	s_clause 0x3
	global_load_b64 v[4:5], v2, s[8:9] scale_offset
	global_load_b64 v[6:7], v2, s[10:11] scale_offset
	;; [unrolled: 1-line block ×4, first 2 shown]
	s_wait_xcnt 0x0
	v_lshlrev_b32_e32 v2, 3, v0
	s_wait_loadcnt 0x2
	ds_store_2addr_stride64_b64 v2, v[4:5], v[6:7] offset1:8
	s_wait_loadcnt 0x0
	ds_store_2addr_stride64_b64 v2, v[8:9], v[10:11] offset0:16 offset1:32
	s_wait_dscnt 0x0
	s_barrier_signal -1
	s_barrier_wait -1
	ds_load_2addr_stride64_b64 v[4:7], v2 offset1:8
	ds_load_2addr_stride64_b64 v[8:11], v3 offset1:8
	s_wait_dscnt 0x0
	v_div_scale_f64 v[20:21], null, v[10:11], v[10:11], v[4:5]
	v_div_scale_f64 v[32:33], vcc_lo, v[4:5], v[10:11], v[4:5]
	v_add_nc_u32_e32 v36, 8, v12
	ds_load_2addr_stride64_b64 v[12:15], v2 offset0:16 offset1:32
	ds_load_2addr_stride64_b64 v[16:19], v36 offset1:8
	s_wait_dscnt 0x0
	v_div_scale_f64 v[22:23], null, v[18:19], v[18:19], v[12:13]
	v_rcp_f64_e32 v[24:25], v[20:21]
	s_delay_alu instid0(VALU_DEP_1) | instskip(NEXT) | instid1(TRANS32_DEP_2)
	v_rcp_f64_e32 v[26:27], v[22:23]
	v_fma_f64 v[28:29], -v[20:21], v[24:25], 1.0
	s_delay_alu instid0(TRANS32_DEP_1) | instskip(NEXT) | instid1(VALU_DEP_2)
	v_fma_f64 v[30:31], -v[22:23], v[26:27], 1.0
	v_fmac_f64_e32 v[24:25], v[24:25], v[28:29]
	s_delay_alu instid0(VALU_DEP_2) | instskip(NEXT) | instid1(VALU_DEP_2)
	v_fmac_f64_e32 v[26:27], v[26:27], v[30:31]
	v_fma_f64 v[28:29], -v[20:21], v[24:25], 1.0
	s_delay_alu instid0(VALU_DEP_2) | instskip(NEXT) | instid1(VALU_DEP_2)
	v_fma_f64 v[30:31], -v[22:23], v[26:27], 1.0
	v_fmac_f64_e32 v[24:25], v[24:25], v[28:29]
	v_div_scale_f64 v[28:29], s3, v[12:13], v[18:19], v[12:13]
	s_delay_alu instid0(VALU_DEP_3) | instskip(NEXT) | instid1(VALU_DEP_3)
	v_fmac_f64_e32 v[26:27], v[26:27], v[30:31]
	v_mul_f64_e32 v[30:31], v[32:33], v[24:25]
	s_delay_alu instid0(VALU_DEP_2) | instskip(NEXT) | instid1(VALU_DEP_2)
	v_mul_f64_e32 v[34:35], v[28:29], v[26:27]
	v_fma_f64 v[20:21], -v[20:21], v[30:31], v[32:33]
	s_delay_alu instid0(VALU_DEP_2) | instskip(NEXT) | instid1(VALU_DEP_2)
	v_fma_f64 v[22:23], -v[22:23], v[34:35], v[28:29]
	v_div_fmas_f64 v[20:21], v[20:21], v[24:25], v[30:31]
	s_mov_b32 vcc_lo, s3
	s_delay_alu instid0(VALU_DEP_2) | instskip(NEXT) | instid1(VALU_DEP_2)
	v_div_fmas_f64 v[24:25], v[22:23], v[26:27], v[34:35]
	v_div_fixup_f64 v[10:11], v[20:21], v[10:11], v[4:5]
	ds_load_2addr_stride64_b64 v[20:23], v3 offset0:16 offset1:32
	v_sub_nc_u32_e64 v3, v0, 2 clamp
	s_delay_alu instid0(VALU_DEP_1)
	v_lshlrev_b32_e32 v3, 3, v3
	v_div_fixup_f64 v[12:13], v[24:25], v[18:19], v[12:13]
	s_wait_dscnt 0x0
	v_fma_f64 v[18:19], -v[10:11], v[20:21], v[6:7]
	v_fma_f64 v[14:15], -v[10:11], v[22:23], v[14:15]
	ds_load_2addr_stride64_b64 v[4:7], v36 offset0:16 offset1:32
	v_mul_f64_e64 v[8:9], v[10:11], -v[8:9]
	s_wait_dscnt 0x0
	s_barrier_signal -1
	s_barrier_wait -1
	v_mul_f64_e64 v[4:5], v[12:13], -v[4:5]
	v_fma_f64 v[10:11], -v[12:13], v[16:17], v[18:19]
	v_fma_f64 v[6:7], -v[12:13], v[6:7], v[14:15]
	v_min_u32_e32 v12, 0x1fd, v0
	ds_store_2addr_stride64_b64 v2, v[8:9], v[10:11] offset1:8
	ds_store_2addr_stride64_b64 v2, v[4:5], v[6:7] offset0:16 offset1:32
	s_wait_dscnt 0x0
	s_barrier_signal -1
	s_barrier_wait -1
	ds_load_2addr_stride64_b64 v[4:7], v2 offset1:8
	ds_load_2addr_stride64_b64 v[8:11], v3 offset1:8
	v_lshlrev_b32_e32 v12, 3, v12
	s_delay_alu instid0(VALU_DEP_1)
	v_add_nc_u32_e32 v36, 16, v12
	ds_load_2addr_stride64_b64 v[12:15], v2 offset0:16 offset1:32
	ds_load_2addr_stride64_b64 v[16:19], v36 offset1:8
	s_wait_dscnt 0x2
	v_div_scale_f64 v[20:21], null, v[10:11], v[10:11], v[4:5]
	v_div_scale_f64 v[32:33], vcc_lo, v[4:5], v[10:11], v[4:5]
	s_wait_dscnt 0x0
	v_div_scale_f64 v[22:23], null, v[18:19], v[18:19], v[12:13]
	s_delay_alu instid0(VALU_DEP_3) | instskip(NEXT) | instid1(VALU_DEP_1)
	v_rcp_f64_e32 v[24:25], v[20:21]
	v_rcp_f64_e32 v[26:27], v[22:23]
	s_delay_alu instid0(TRANS32_DEP_2) | instskip(NEXT) | instid1(TRANS32_DEP_1)
	v_fma_f64 v[28:29], -v[20:21], v[24:25], 1.0
	v_fma_f64 v[30:31], -v[22:23], v[26:27], 1.0
	s_delay_alu instid0(VALU_DEP_2) | instskip(NEXT) | instid1(VALU_DEP_2)
	v_fmac_f64_e32 v[24:25], v[24:25], v[28:29]
	v_fmac_f64_e32 v[26:27], v[26:27], v[30:31]
	s_delay_alu instid0(VALU_DEP_2) | instskip(NEXT) | instid1(VALU_DEP_2)
	v_fma_f64 v[28:29], -v[20:21], v[24:25], 1.0
	v_fma_f64 v[30:31], -v[22:23], v[26:27], 1.0
	s_delay_alu instid0(VALU_DEP_2) | instskip(SKIP_1) | instid1(VALU_DEP_3)
	v_fmac_f64_e32 v[24:25], v[24:25], v[28:29]
	v_div_scale_f64 v[28:29], s3, v[12:13], v[18:19], v[12:13]
	v_fmac_f64_e32 v[26:27], v[26:27], v[30:31]
	s_delay_alu instid0(VALU_DEP_3) | instskip(NEXT) | instid1(VALU_DEP_2)
	v_mul_f64_e32 v[30:31], v[32:33], v[24:25]
	v_mul_f64_e32 v[34:35], v[28:29], v[26:27]
	s_delay_alu instid0(VALU_DEP_2) | instskip(NEXT) | instid1(VALU_DEP_2)
	v_fma_f64 v[20:21], -v[20:21], v[30:31], v[32:33]
	v_fma_f64 v[22:23], -v[22:23], v[34:35], v[28:29]
	s_delay_alu instid0(VALU_DEP_2) | instskip(SKIP_1) | instid1(VALU_DEP_2)
	v_div_fmas_f64 v[20:21], v[20:21], v[24:25], v[30:31]
	s_mov_b32 vcc_lo, s3
	v_div_fmas_f64 v[24:25], v[22:23], v[26:27], v[34:35]
	s_delay_alu instid0(VALU_DEP_2) | instskip(SKIP_2) | instid1(VALU_DEP_1)
	v_div_fixup_f64 v[10:11], v[20:21], v[10:11], v[4:5]
	ds_load_2addr_stride64_b64 v[20:23], v3 offset0:16 offset1:32
	v_sub_nc_u32_e64 v3, v0, 4 clamp
	v_lshlrev_b32_e32 v3, 3, v3
	v_div_fixup_f64 v[12:13], v[24:25], v[18:19], v[12:13]
	s_wait_dscnt 0x0
	v_fma_f64 v[18:19], -v[10:11], v[20:21], v[6:7]
	v_fma_f64 v[14:15], -v[10:11], v[22:23], v[14:15]
	ds_load_2addr_stride64_b64 v[4:7], v36 offset0:16 offset1:32
	v_mul_f64_e64 v[8:9], v[10:11], -v[8:9]
	s_wait_dscnt 0x0
	s_barrier_signal -1
	s_barrier_wait -1
	v_mul_f64_e64 v[4:5], v[12:13], -v[4:5]
	v_fma_f64 v[10:11], -v[12:13], v[16:17], v[18:19]
	v_fma_f64 v[6:7], -v[12:13], v[6:7], v[14:15]
	v_min_u32_e32 v12, 0x1fb, v0
	ds_store_2addr_stride64_b64 v2, v[8:9], v[10:11] offset1:8
	ds_store_2addr_stride64_b64 v2, v[4:5], v[6:7] offset0:16 offset1:32
	s_wait_dscnt 0x0
	s_barrier_signal -1
	s_barrier_wait -1
	ds_load_2addr_stride64_b64 v[4:7], v2 offset1:8
	ds_load_2addr_stride64_b64 v[8:11], v3 offset1:8
	v_lshlrev_b32_e32 v12, 3, v12
	s_delay_alu instid0(VALU_DEP_1)
	v_add_nc_u32_e32 v36, 32, v12
	ds_load_2addr_stride64_b64 v[12:15], v2 offset0:16 offset1:32
	ds_load_2addr_stride64_b64 v[16:19], v36 offset1:8
	s_wait_dscnt 0x2
	v_div_scale_f64 v[20:21], null, v[10:11], v[10:11], v[4:5]
	v_div_scale_f64 v[32:33], vcc_lo, v[4:5], v[10:11], v[4:5]
	s_wait_dscnt 0x0
	v_div_scale_f64 v[22:23], null, v[18:19], v[18:19], v[12:13]
	s_delay_alu instid0(VALU_DEP_3) | instskip(NEXT) | instid1(VALU_DEP_1)
	v_rcp_f64_e32 v[24:25], v[20:21]
	v_rcp_f64_e32 v[26:27], v[22:23]
	s_delay_alu instid0(TRANS32_DEP_2) | instskip(NEXT) | instid1(TRANS32_DEP_1)
	v_fma_f64 v[28:29], -v[20:21], v[24:25], 1.0
	v_fma_f64 v[30:31], -v[22:23], v[26:27], 1.0
	s_delay_alu instid0(VALU_DEP_2) | instskip(NEXT) | instid1(VALU_DEP_2)
	v_fmac_f64_e32 v[24:25], v[24:25], v[28:29]
	v_fmac_f64_e32 v[26:27], v[26:27], v[30:31]
	s_delay_alu instid0(VALU_DEP_2) | instskip(NEXT) | instid1(VALU_DEP_2)
	v_fma_f64 v[28:29], -v[20:21], v[24:25], 1.0
	v_fma_f64 v[30:31], -v[22:23], v[26:27], 1.0
	s_delay_alu instid0(VALU_DEP_2) | instskip(SKIP_1) | instid1(VALU_DEP_3)
	v_fmac_f64_e32 v[24:25], v[24:25], v[28:29]
	v_div_scale_f64 v[28:29], s3, v[12:13], v[18:19], v[12:13]
	v_fmac_f64_e32 v[26:27], v[26:27], v[30:31]
	s_delay_alu instid0(VALU_DEP_3) | instskip(NEXT) | instid1(VALU_DEP_2)
	v_mul_f64_e32 v[30:31], v[32:33], v[24:25]
	v_mul_f64_e32 v[34:35], v[28:29], v[26:27]
	s_delay_alu instid0(VALU_DEP_2) | instskip(NEXT) | instid1(VALU_DEP_2)
	v_fma_f64 v[20:21], -v[20:21], v[30:31], v[32:33]
	v_fma_f64 v[22:23], -v[22:23], v[34:35], v[28:29]
	s_delay_alu instid0(VALU_DEP_2) | instskip(SKIP_1) | instid1(VALU_DEP_2)
	v_div_fmas_f64 v[20:21], v[20:21], v[24:25], v[30:31]
	s_mov_b32 vcc_lo, s3
	v_div_fmas_f64 v[24:25], v[22:23], v[26:27], v[34:35]
	s_delay_alu instid0(VALU_DEP_2) | instskip(SKIP_2) | instid1(VALU_DEP_1)
	v_div_fixup_f64 v[10:11], v[20:21], v[10:11], v[4:5]
	ds_load_2addr_stride64_b64 v[20:23], v3 offset0:16 offset1:32
	v_sub_nc_u32_e64 v3, v0, 8 clamp
	;; [unrolled: 61-line block ×5, first 2 shown]
	v_lshlrev_b32_e32 v3, 3, v3
	v_div_fixup_f64 v[12:13], v[24:25], v[18:19], v[12:13]
	s_wait_dscnt 0x0
	v_fma_f64 v[18:19], -v[10:11], v[20:21], v[6:7]
	v_fma_f64 v[14:15], -v[10:11], v[22:23], v[14:15]
	ds_load_2addr_stride64_b64 v[4:7], v36 offset0:16 offset1:32
	v_mul_f64_e64 v[8:9], v[10:11], -v[8:9]
	s_wait_dscnt 0x0
	s_barrier_signal -1
	s_barrier_wait -1
	v_mul_f64_e64 v[4:5], v[12:13], -v[4:5]
	v_fma_f64 v[10:11], -v[12:13], v[16:17], v[18:19]
	v_fma_f64 v[6:7], -v[12:13], v[6:7], v[14:15]
	ds_store_2addr_stride64_b64 v2, v[8:9], v[10:11] offset1:8
	ds_store_2addr_stride64_b64 v2, v[4:5], v[6:7] offset0:16 offset1:32
	s_wait_dscnt 0x0
	s_barrier_signal -1
	s_barrier_wait -1
	ds_load_2addr_stride64_b64 v[4:7], v2 offset1:8
	ds_load_2addr_stride64_b64 v[8:11], v3 offset1:8
	v_min_u32_e32 v12, 0x1bf, v0
	s_delay_alu instid0(VALU_DEP_1)
	v_lshlrev_b32_e32 v36, 3, v12
	ds_load_2addr_stride64_b64 v[12:15], v2 offset0:16 offset1:32
	ds_load_2addr_stride64_b64 v[16:19], v36 offset0:1 offset1:9
	s_wait_dscnt 0x2
	v_div_scale_f64 v[20:21], null, v[10:11], v[10:11], v[4:5]
	v_div_scale_f64 v[32:33], vcc_lo, v[4:5], v[10:11], v[4:5]
	s_wait_dscnt 0x0
	v_div_scale_f64 v[22:23], null, v[18:19], v[18:19], v[12:13]
	s_delay_alu instid0(VALU_DEP_3) | instskip(NEXT) | instid1(VALU_DEP_1)
	v_rcp_f64_e32 v[24:25], v[20:21]
	v_rcp_f64_e32 v[26:27], v[22:23]
	s_delay_alu instid0(TRANS32_DEP_2) | instskip(NEXT) | instid1(TRANS32_DEP_1)
	v_fma_f64 v[28:29], -v[20:21], v[24:25], 1.0
	v_fma_f64 v[30:31], -v[22:23], v[26:27], 1.0
	s_delay_alu instid0(VALU_DEP_2) | instskip(NEXT) | instid1(VALU_DEP_2)
	v_fmac_f64_e32 v[24:25], v[24:25], v[28:29]
	v_fmac_f64_e32 v[26:27], v[26:27], v[30:31]
	s_delay_alu instid0(VALU_DEP_2) | instskip(NEXT) | instid1(VALU_DEP_2)
	v_fma_f64 v[28:29], -v[20:21], v[24:25], 1.0
	v_fma_f64 v[30:31], -v[22:23], v[26:27], 1.0
	s_delay_alu instid0(VALU_DEP_2) | instskip(SKIP_1) | instid1(VALU_DEP_3)
	v_fmac_f64_e32 v[24:25], v[24:25], v[28:29]
	v_div_scale_f64 v[28:29], s3, v[12:13], v[18:19], v[12:13]
	v_fmac_f64_e32 v[26:27], v[26:27], v[30:31]
	s_delay_alu instid0(VALU_DEP_3) | instskip(NEXT) | instid1(VALU_DEP_2)
	v_mul_f64_e32 v[30:31], v[32:33], v[24:25]
	v_mul_f64_e32 v[34:35], v[28:29], v[26:27]
	s_delay_alu instid0(VALU_DEP_2) | instskip(NEXT) | instid1(VALU_DEP_2)
	v_fma_f64 v[20:21], -v[20:21], v[30:31], v[32:33]
	v_fma_f64 v[22:23], -v[22:23], v[34:35], v[28:29]
	s_delay_alu instid0(VALU_DEP_2) | instskip(SKIP_1) | instid1(VALU_DEP_2)
	v_div_fmas_f64 v[20:21], v[20:21], v[24:25], v[30:31]
	s_mov_b32 vcc_lo, s3
	v_div_fmas_f64 v[24:25], v[22:23], v[26:27], v[34:35]
	s_delay_alu instid0(VALU_DEP_2) | instskip(SKIP_2) | instid1(VALU_DEP_1)
	v_div_fixup_f64 v[10:11], v[20:21], v[10:11], v[4:5]
	ds_load_2addr_stride64_b64 v[20:23], v3 offset0:16 offset1:32
	v_subrev_nc_u32_e64 v3, 0x80, v0 clamp
	v_lshlrev_b32_e32 v3, 3, v3
	v_div_fixup_f64 v[12:13], v[24:25], v[18:19], v[12:13]
	s_wait_dscnt 0x0
	v_fma_f64 v[18:19], -v[10:11], v[20:21], v[6:7]
	v_fma_f64 v[14:15], -v[10:11], v[22:23], v[14:15]
	ds_load_2addr_stride64_b64 v[4:7], v36 offset0:17 offset1:33
	v_mul_f64_e64 v[8:9], v[10:11], -v[8:9]
	s_wait_dscnt 0x0
	s_barrier_signal -1
	s_barrier_wait -1
	v_mul_f64_e64 v[4:5], v[12:13], -v[4:5]
	v_fma_f64 v[10:11], -v[12:13], v[16:17], v[18:19]
	v_fma_f64 v[6:7], -v[12:13], v[6:7], v[14:15]
	ds_store_2addr_stride64_b64 v2, v[8:9], v[10:11] offset1:8
	ds_store_2addr_stride64_b64 v2, v[4:5], v[6:7] offset0:16 offset1:32
	s_wait_dscnt 0x0
	s_barrier_signal -1
	s_barrier_wait -1
	ds_load_2addr_stride64_b64 v[4:7], v2 offset1:8
	ds_load_2addr_stride64_b64 v[8:11], v3 offset1:8
	v_min_u32_e32 v12, 0x17f, v0
	s_delay_alu instid0(VALU_DEP_1)
	v_lshlrev_b32_e32 v36, 3, v12
	ds_load_2addr_stride64_b64 v[12:15], v2 offset0:16 offset1:32
	ds_load_2addr_stride64_b64 v[16:19], v36 offset0:2 offset1:10
	s_wait_dscnt 0x2
	v_div_scale_f64 v[20:21], null, v[10:11], v[10:11], v[4:5]
	v_div_scale_f64 v[32:33], vcc_lo, v[4:5], v[10:11], v[4:5]
	s_wait_dscnt 0x0
	v_div_scale_f64 v[22:23], null, v[18:19], v[18:19], v[12:13]
	s_delay_alu instid0(VALU_DEP_3) | instskip(NEXT) | instid1(VALU_DEP_1)
	v_rcp_f64_e32 v[24:25], v[20:21]
	v_rcp_f64_e32 v[26:27], v[22:23]
	s_delay_alu instid0(TRANS32_DEP_2) | instskip(NEXT) | instid1(TRANS32_DEP_1)
	v_fma_f64 v[28:29], -v[20:21], v[24:25], 1.0
	v_fma_f64 v[30:31], -v[22:23], v[26:27], 1.0
	s_delay_alu instid0(VALU_DEP_2) | instskip(NEXT) | instid1(VALU_DEP_2)
	v_fmac_f64_e32 v[24:25], v[24:25], v[28:29]
	v_fmac_f64_e32 v[26:27], v[26:27], v[30:31]
	s_delay_alu instid0(VALU_DEP_2) | instskip(NEXT) | instid1(VALU_DEP_2)
	v_fma_f64 v[28:29], -v[20:21], v[24:25], 1.0
	v_fma_f64 v[30:31], -v[22:23], v[26:27], 1.0
	s_delay_alu instid0(VALU_DEP_2) | instskip(SKIP_1) | instid1(VALU_DEP_3)
	v_fmac_f64_e32 v[24:25], v[24:25], v[28:29]
	v_div_scale_f64 v[28:29], s3, v[12:13], v[18:19], v[12:13]
	v_fmac_f64_e32 v[26:27], v[26:27], v[30:31]
	s_delay_alu instid0(VALU_DEP_3) | instskip(NEXT) | instid1(VALU_DEP_2)
	v_mul_f64_e32 v[30:31], v[32:33], v[24:25]
	v_mul_f64_e32 v[34:35], v[28:29], v[26:27]
	s_delay_alu instid0(VALU_DEP_2) | instskip(NEXT) | instid1(VALU_DEP_2)
	v_fma_f64 v[20:21], -v[20:21], v[30:31], v[32:33]
	v_fma_f64 v[22:23], -v[22:23], v[34:35], v[28:29]
	s_delay_alu instid0(VALU_DEP_2) | instskip(SKIP_2) | instid1(VALU_DEP_2)
	v_div_fmas_f64 v[20:21], v[20:21], v[24:25], v[30:31]
	s_mov_b32 vcc_lo, s3
	s_mov_b32 s3, exec_lo
	v_div_fmas_f64 v[24:25], v[22:23], v[26:27], v[34:35]
	s_delay_alu instid0(VALU_DEP_2)
	v_div_fixup_f64 v[10:11], v[20:21], v[10:11], v[4:5]
	ds_load_2addr_stride64_b64 v[20:23], v3 offset0:16 offset1:32
	v_div_fixup_f64 v[12:13], v[24:25], v[18:19], v[12:13]
	s_wait_dscnt 0x0
	v_fma_f64 v[18:19], -v[10:11], v[20:21], v[6:7]
	v_fma_f64 v[14:15], -v[10:11], v[22:23], v[14:15]
	ds_load_2addr_stride64_b64 v[4:7], v36 offset0:18 offset1:34
	v_mul_f64_e64 v[8:9], v[10:11], -v[8:9]
	s_wait_dscnt 0x0
	s_barrier_signal -1
	s_barrier_wait -1
	v_mul_f64_e64 v[4:5], v[12:13], -v[4:5]
	v_fma_f64 v[10:11], -v[12:13], v[16:17], v[18:19]
	v_fma_f64 v[6:7], -v[12:13], v[6:7], v[14:15]
	ds_store_2addr_stride64_b64 v2, v[8:9], v[10:11] offset1:8
	ds_store_2addr_stride64_b64 v2, v[4:5], v[6:7] offset0:16 offset1:32
	s_wait_dscnt 0x0
	s_barrier_signal -1
	s_barrier_wait -1
	v_cmpx_gt_u32_e32 0x100, v0
	s_cbranch_execz .LBB41_2
; %bb.1:
	v_or_b32_e32 v0, 0x2000, v2
	ds_load_b64 v[12:13], v0
	ds_load_b64 v[14:15], v2 offset:2048
	v_or_b32_e32 v0, 0x1000, v2
	ds_load_2addr_stride64_b64 v[4:7], v0 offset1:4
	v_or_b32_e32 v0, 0x4000, v2
	s_wait_dscnt 0x1
	v_mul_f64_e32 v[8:9], v[12:13], v[14:15]
	s_wait_dscnt 0x0
	s_delay_alu instid0(VALU_DEP_1) | instskip(NEXT) | instid1(VALU_DEP_1)
	v_fma_f64 v[16:17], v[6:7], v[4:5], -v[8:9]
	v_div_scale_f64 v[8:9], null, v[16:17], v[16:17], 1.0
	v_div_scale_f64 v[20:21], vcc_lo, 1.0, v[16:17], 1.0
	s_delay_alu instid0(VALU_DEP_2) | instskip(SKIP_1) | instid1(TRANS32_DEP_1)
	v_rcp_f64_e32 v[18:19], v[8:9]
	v_nop
	v_fma_f64 v[10:11], -v[8:9], v[18:19], 1.0
	s_delay_alu instid0(VALU_DEP_1) | instskip(NEXT) | instid1(VALU_DEP_1)
	v_fmac_f64_e32 v[18:19], v[18:19], v[10:11]
	v_fma_f64 v[10:11], -v[8:9], v[18:19], 1.0
	s_delay_alu instid0(VALU_DEP_1) | instskip(NEXT) | instid1(VALU_DEP_1)
	v_fmac_f64_e32 v[18:19], v[18:19], v[10:11]
	v_mul_f64_e32 v[22:23], v[20:21], v[18:19]
	s_delay_alu instid0(VALU_DEP_1)
	v_fma_f64 v[20:21], -v[8:9], v[22:23], v[20:21]
	ds_load_2addr_stride64_b64 v[8:11], v0 offset1:4
	s_wait_dscnt 0x0
	v_mul_f64_e32 v[12:13], v[12:13], v[10:11]
	v_mul_f64_e32 v[14:15], v[14:15], v[8:9]
	v_div_fmas_f64 v[18:19], v[20:21], v[18:19], v[22:23]
	s_delay_alu instid0(VALU_DEP_3) | instskip(NEXT) | instid1(VALU_DEP_3)
	v_fma_f64 v[6:7], v[6:7], v[8:9], -v[12:13]
	v_fma_f64 v[4:5], v[4:5], v[10:11], -v[14:15]
	s_delay_alu instid0(VALU_DEP_3) | instskip(NEXT) | instid1(VALU_DEP_1)
	v_div_fixup_f64 v[8:9], v[18:19], v[16:17], 1.0
	v_mul_f64_e32 v[6:7], v[8:9], v[6:7]
	s_delay_alu instid0(VALU_DEP_3)
	v_mul_f64_e32 v[4:5], v[8:9], v[4:5]
	ds_store_2addr_stride64_b64 v2, v[6:7], v[4:5] offset0:24 offset1:28
.LBB41_2:
	s_or_b32 exec_lo, exec_lo, s3
	s_wait_dscnt 0x0
	s_barrier_signal -1
	s_barrier_wait -1
	s_and_saveexec_b32 s3, s2
	s_cbranch_execz .LBB41_4
; %bb.3:
	s_clause 0x1
	s_load_b32 s5, s[0:1], 0x8
	s_load_b64 s[2:3], s[0:1], 0x30
	ds_load_b64 v[2:3], v2 offset:12288
	s_wait_kmcnt 0x0
	v_mad_u32 v0, s5, s4, v1
	s_wait_dscnt 0x0
	global_store_b64 v0, v[2:3], s[2:3] scale_offset
.LBB41_4:
	s_endpgm
	.section	.rodata,"a",@progbits
	.p2align	6, 0x0
	.amdhsa_kernel _ZN9rocsparseL44gtsv_nopivot_strided_batch_pcr_stage2_kernelILj512EdEEviiiPKT0_S3_S3_S3_PS1_
		.amdhsa_group_segment_fixed_size 20480
		.amdhsa_private_segment_fixed_size 0
		.amdhsa_kernarg_size 312
		.amdhsa_user_sgpr_count 2
		.amdhsa_user_sgpr_dispatch_ptr 0
		.amdhsa_user_sgpr_queue_ptr 0
		.amdhsa_user_sgpr_kernarg_segment_ptr 1
		.amdhsa_user_sgpr_dispatch_id 0
		.amdhsa_user_sgpr_kernarg_preload_length 0
		.amdhsa_user_sgpr_kernarg_preload_offset 0
		.amdhsa_user_sgpr_private_segment_size 0
		.amdhsa_wavefront_size32 1
		.amdhsa_uses_dynamic_stack 0
		.amdhsa_enable_private_segment 0
		.amdhsa_system_sgpr_workgroup_id_x 1
		.amdhsa_system_sgpr_workgroup_id_y 1
		.amdhsa_system_sgpr_workgroup_id_z 0
		.amdhsa_system_sgpr_workgroup_info 0
		.amdhsa_system_vgpr_workitem_id 0
		.amdhsa_next_free_vgpr 37
		.amdhsa_next_free_sgpr 17
		.amdhsa_named_barrier_count 0
		.amdhsa_reserve_vcc 1
		.amdhsa_float_round_mode_32 0
		.amdhsa_float_round_mode_16_64 0
		.amdhsa_float_denorm_mode_32 3
		.amdhsa_float_denorm_mode_16_64 3
		.amdhsa_fp16_overflow 0
		.amdhsa_memory_ordered 1
		.amdhsa_forward_progress 1
		.amdhsa_inst_pref_size 28
		.amdhsa_round_robin_scheduling 0
		.amdhsa_exception_fp_ieee_invalid_op 0
		.amdhsa_exception_fp_denorm_src 0
		.amdhsa_exception_fp_ieee_div_zero 0
		.amdhsa_exception_fp_ieee_overflow 0
		.amdhsa_exception_fp_ieee_underflow 0
		.amdhsa_exception_fp_ieee_inexact 0
		.amdhsa_exception_int_div_zero 0
	.end_amdhsa_kernel
	.section	.text._ZN9rocsparseL44gtsv_nopivot_strided_batch_pcr_stage2_kernelILj512EdEEviiiPKT0_S3_S3_S3_PS1_,"axG",@progbits,_ZN9rocsparseL44gtsv_nopivot_strided_batch_pcr_stage2_kernelILj512EdEEviiiPKT0_S3_S3_S3_PS1_,comdat
.Lfunc_end41:
	.size	_ZN9rocsparseL44gtsv_nopivot_strided_batch_pcr_stage2_kernelILj512EdEEviiiPKT0_S3_S3_S3_PS1_, .Lfunc_end41-_ZN9rocsparseL44gtsv_nopivot_strided_batch_pcr_stage2_kernelILj512EdEEviiiPKT0_S3_S3_S3_PS1_
                                        ; -- End function
	.set _ZN9rocsparseL44gtsv_nopivot_strided_batch_pcr_stage2_kernelILj512EdEEviiiPKT0_S3_S3_S3_PS1_.num_vgpr, 37
	.set _ZN9rocsparseL44gtsv_nopivot_strided_batch_pcr_stage2_kernelILj512EdEEviiiPKT0_S3_S3_S3_PS1_.num_agpr, 0
	.set _ZN9rocsparseL44gtsv_nopivot_strided_batch_pcr_stage2_kernelILj512EdEEviiiPKT0_S3_S3_S3_PS1_.numbered_sgpr, 17
	.set _ZN9rocsparseL44gtsv_nopivot_strided_batch_pcr_stage2_kernelILj512EdEEviiiPKT0_S3_S3_S3_PS1_.num_named_barrier, 0
	.set _ZN9rocsparseL44gtsv_nopivot_strided_batch_pcr_stage2_kernelILj512EdEEviiiPKT0_S3_S3_S3_PS1_.private_seg_size, 0
	.set _ZN9rocsparseL44gtsv_nopivot_strided_batch_pcr_stage2_kernelILj512EdEEviiiPKT0_S3_S3_S3_PS1_.uses_vcc, 1
	.set _ZN9rocsparseL44gtsv_nopivot_strided_batch_pcr_stage2_kernelILj512EdEEviiiPKT0_S3_S3_S3_PS1_.uses_flat_scratch, 0
	.set _ZN9rocsparseL44gtsv_nopivot_strided_batch_pcr_stage2_kernelILj512EdEEviiiPKT0_S3_S3_S3_PS1_.has_dyn_sized_stack, 0
	.set _ZN9rocsparseL44gtsv_nopivot_strided_batch_pcr_stage2_kernelILj512EdEEviiiPKT0_S3_S3_S3_PS1_.has_recursion, 0
	.set _ZN9rocsparseL44gtsv_nopivot_strided_batch_pcr_stage2_kernelILj512EdEEviiiPKT0_S3_S3_S3_PS1_.has_indirect_call, 0
	.section	.AMDGPU.csdata,"",@progbits
; Kernel info:
; codeLenInByte = 3484
; TotalNumSgprs: 19
; NumVgprs: 37
; ScratchSize: 0
; MemoryBound: 1
; FloatMode: 240
; IeeeMode: 1
; LDSByteSize: 20480 bytes/workgroup (compile time only)
; SGPRBlocks: 0
; VGPRBlocks: 2
; NumSGPRsForWavesPerEU: 19
; NumVGPRsForWavesPerEU: 37
; NamedBarCnt: 0
; Occupancy: 16
; WaveLimiterHint : 1
; COMPUTE_PGM_RSRC2:SCRATCH_EN: 0
; COMPUTE_PGM_RSRC2:USER_SGPR: 2
; COMPUTE_PGM_RSRC2:TRAP_HANDLER: 0
; COMPUTE_PGM_RSRC2:TGID_X_EN: 1
; COMPUTE_PGM_RSRC2:TGID_Y_EN: 1
; COMPUTE_PGM_RSRC2:TGID_Z_EN: 0
; COMPUTE_PGM_RSRC2:TIDIG_COMP_CNT: 0
	.section	.text._ZN9rocsparseL49gtsv_nopivot_strided_batch_pcr_pow2_shared_kernelILj2E21rocsparse_complex_numIfEEEviiiPKT0_S5_S5_PS3_,"axG",@progbits,_ZN9rocsparseL49gtsv_nopivot_strided_batch_pcr_pow2_shared_kernelILj2E21rocsparse_complex_numIfEEEviiiPKT0_S5_S5_PS3_,comdat
	.globl	_ZN9rocsparseL49gtsv_nopivot_strided_batch_pcr_pow2_shared_kernelILj2E21rocsparse_complex_numIfEEEviiiPKT0_S5_S5_PS3_ ; -- Begin function _ZN9rocsparseL49gtsv_nopivot_strided_batch_pcr_pow2_shared_kernelILj2E21rocsparse_complex_numIfEEEviiiPKT0_S5_S5_PS3_
	.p2align	8
	.type	_ZN9rocsparseL49gtsv_nopivot_strided_batch_pcr_pow2_shared_kernelILj2E21rocsparse_complex_numIfEEEviiiPKT0_S5_S5_PS3_,@function
_ZN9rocsparseL49gtsv_nopivot_strided_batch_pcr_pow2_shared_kernelILj2E21rocsparse_complex_numIfEEEviiiPKT0_S5_S5_PS3_: ; @_ZN9rocsparseL49gtsv_nopivot_strided_batch_pcr_pow2_shared_kernelILj2E21rocsparse_complex_numIfEEEviiiPKT0_S5_S5_PS3_
; %bb.0:
	s_load_b32 s2, s[0:1], 0x8
	s_bfe_u32 s3, ttmp6, 0x4000c
	s_load_b256 s[4:11], s[0:1], 0x10
	s_add_co_i32 s3, s3, 1
	s_wait_xcnt 0x0
	s_and_b32 s0, ttmp6, 15
	s_mul_i32 s1, ttmp9, s3
	s_getreg_b32 s3, hwreg(HW_REG_IB_STS2, 6, 4)
	s_add_co_i32 s0, s0, s1
	s_cmp_eq_u32 s3, 0
	v_lshlrev_b32_e32 v2, 3, v0
	s_cselect_b32 s0, ttmp9, s0
	v_cmp_eq_u32_e32 vcc_lo, 0, v0
	s_wait_kmcnt 0x0
	v_mad_u32 v4, s2, s0, v0
	s_clause 0x3
	global_load_b64 v[6:7], v4, s[4:5] scale_offset
	global_load_b64 v[8:9], v4, s[6:7] scale_offset
	;; [unrolled: 1-line block ×4, first 2 shown]
	v_ashrrev_i32_e32 v5, 31, v4
	s_wait_loadcnt 0x2
	ds_store_2addr_b64 v2, v[6:7], v[8:9] offset1:4
	s_wait_loadcnt 0x0
	ds_store_2addr_b64 v2, v[10:11], v[12:13] offset0:8 offset1:16
	v_lshl_add_u64 v[0:1], v[4:5], 3, s[10:11]
	s_wait_dscnt 0x0
	; wave barrier
	s_and_saveexec_b32 s0, vcc_lo
	s_cbranch_execz .LBB42_2
; %bb.1:
	v_dual_mov_b32 v3, 0 :: v_dual_bitop2_b32 v8, 32, v2 bitop3:0x54
	v_or_b32_e32 v10, 64, v2
	v_or_b32_e32 v13, 0x80, v2
	ds_load_2addr_b64 v[4:7], v3 offset0:1 offset1:5
	ds_load_b64 v[8:9], v8
	ds_load_b64 v[10:11], v10
	ds_load_b32 v12, v13
	ds_load_b64 v[14:15], v13
	s_wait_dscnt 0x3
	v_pk_mul_f32 v[16:17], v[8:9], v[6:7] op_sel:[1,1] op_sel_hi:[1,0] neg_lo:[0,1]
	s_wait_dscnt 0x2
	v_pk_mul_f32 v[18:19], v[4:5], v[10:11] op_sel:[1,1] op_sel_hi:[1,0] neg_lo:[0,1]
	;; [unrolled: 2-line block ×3, first 2 shown]
	v_pk_fma_f32 v[16:17], v[6:7], v[8:9], v[16:17] op_sel_hi:[1,0,1]
	s_delay_alu instid0(VALU_DEP_3) | instskip(NEXT) | instid1(VALU_DEP_3)
	v_pk_fma_f32 v[18:19], v[10:11], v[4:5], v[18:19] op_sel_hi:[1,0,1]
	v_pk_fma_f32 v[4:5], v[14:15], v[4:5], v[28:29] op_sel_hi:[1,0,1]
	s_delay_alu instid0(VALU_DEP_2)
	v_pk_add_f32 v[16:17], v[16:17], v[18:19] neg_lo:[0,1] neg_hi:[0,1]
	ds_load_b32 v18, v13 offset:4
	ds_load_b32 v20, v3 offset:140
	ds_load_b64 v[22:23], v3 offset:136
	ds_load_b32 v24, v3 offset:136
	v_mul_f32_e32 v25, v17, v17
	s_delay_alu instid0(VALU_DEP_1) | instskip(NEXT) | instid1(VALU_DEP_1)
	v_fmac_f32_e32 v25, v16, v16
	v_div_scale_f32 v26, null, v25, v25, 1.0
	s_delay_alu instid0(VALU_DEP_1) | instskip(SKIP_2) | instid1(TRANS32_DEP_1)
	v_rcp_f32_e32 v30, v26
	s_wait_dscnt 0x2
	v_pk_mul_f32 v[20:21], v[20:21], v[10:11] op_sel:[0,1] op_sel_hi:[0,0] neg_lo:[0,1]
	v_fma_f32 v19, -v26, v30, 1.0
	s_delay_alu instid0(VALU_DEP_1) | instskip(SKIP_3) | instid1(VALU_DEP_2)
	v_fmac_f32_e32 v30, v19, v30
	v_div_scale_f32 v13, vcc_lo, 1.0, v25, 1.0
	s_wait_dscnt 0x0
	v_pk_fma_f32 v[10:11], v[10:11], v[24:25], v[20:21] op_sel_hi:[1,0,1]
	v_mul_f32_e32 v31, v13, v30
	s_delay_alu instid0(VALU_DEP_1) | instskip(NEXT) | instid1(VALU_DEP_1)
	v_fma_f32 v19, -v26, v31, v13
	v_fmac_f32_e32 v31, v19, v30
	s_delay_alu instid0(VALU_DEP_1) | instskip(SKIP_2) | instid1(VALU_DEP_3)
	v_fma_f32 v13, -v26, v31, v13
	v_pk_mul_f32 v[18:19], v[18:19], v[6:7] op_sel:[0,1] op_sel_hi:[0,0] neg_lo:[0,1]
	v_pk_mul_f32 v[26:27], v[8:9], v[22:23] op_sel:[1,1] op_sel_hi:[1,0] neg_lo:[0,1]
	v_div_fmas_f32 v13, v13, v30, v31
	s_delay_alu instid0(VALU_DEP_2) | instskip(NEXT) | instid1(VALU_DEP_2)
	v_pk_fma_f32 v[8:9], v[22:23], v[8:9], v[26:27] op_sel_hi:[1,0,1]
	v_pk_fma_f32 v[6:7], v[6:7], v[12:13], v[18:19] op_sel_hi:[1,0,1]
	v_fma_f32 v12, v16, 0, -v17
	v_div_fixup_f32 v13, v13, v25, 1.0
	s_delay_alu instid0(VALU_DEP_4) | instskip(NEXT) | instid1(VALU_DEP_4)
	v_pk_add_f32 v[8:9], v[8:9], v[4:5] neg_lo:[0,1] neg_hi:[0,1]
	v_pk_add_f32 v[6:7], v[6:7], v[10:11] neg_lo:[0,1] neg_hi:[0,1]
	v_fma_f32 v11, 0, v17, v16
	s_delay_alu instid0(VALU_DEP_1) | instskip(NEXT) | instid1(VALU_DEP_1)
	v_dual_mul_f32 v10, v12, v13 :: v_dual_mul_f32 v12, v11, v13
	v_pk_mul_f32 v[4:5], v[10:11], v[6:7] op_sel:[0,1] op_sel_hi:[0,0] neg_lo:[0,1]
	v_pk_mul_f32 v[10:11], v[10:11], v[8:9] op_sel:[0,1] op_sel_hi:[0,0] neg_lo:[0,1]
	s_delay_alu instid0(VALU_DEP_2) | instskip(NEXT) | instid1(VALU_DEP_2)
	v_pk_fma_f32 v[4:5], v[6:7], v[12:13], v[4:5] op_sel_hi:[1,0,1]
	v_pk_fma_f32 v[6:7], v[8:9], v[12:13], v[10:11] op_sel_hi:[1,0,1]
	ds_store_b128 v3, v[4:7] offset:96
.LBB42_2:
	s_or_b32 exec_lo, exec_lo, s0
	s_wait_dscnt 0x0
	; wave barrier
	ds_load_b64 v[2:3], v2 offset:96
	s_wait_dscnt 0x0
	global_store_b64 v[0:1], v[2:3], off
	s_endpgm
	.section	.rodata,"a",@progbits
	.p2align	6, 0x0
	.amdhsa_kernel _ZN9rocsparseL49gtsv_nopivot_strided_batch_pcr_pow2_shared_kernelILj2E21rocsparse_complex_numIfEEEviiiPKT0_S5_S5_PS3_
		.amdhsa_group_segment_fixed_size 152
		.amdhsa_private_segment_fixed_size 0
		.amdhsa_kernarg_size 48
		.amdhsa_user_sgpr_count 2
		.amdhsa_user_sgpr_dispatch_ptr 0
		.amdhsa_user_sgpr_queue_ptr 0
		.amdhsa_user_sgpr_kernarg_segment_ptr 1
		.amdhsa_user_sgpr_dispatch_id 0
		.amdhsa_user_sgpr_kernarg_preload_length 0
		.amdhsa_user_sgpr_kernarg_preload_offset 0
		.amdhsa_user_sgpr_private_segment_size 0
		.amdhsa_wavefront_size32 1
		.amdhsa_uses_dynamic_stack 0
		.amdhsa_enable_private_segment 0
		.amdhsa_system_sgpr_workgroup_id_x 1
		.amdhsa_system_sgpr_workgroup_id_y 0
		.amdhsa_system_sgpr_workgroup_id_z 0
		.amdhsa_system_sgpr_workgroup_info 0
		.amdhsa_system_vgpr_workitem_id 0
		.amdhsa_next_free_vgpr 32
		.amdhsa_next_free_sgpr 12
		.amdhsa_named_barrier_count 0
		.amdhsa_reserve_vcc 1
		.amdhsa_float_round_mode_32 0
		.amdhsa_float_round_mode_16_64 0
		.amdhsa_float_denorm_mode_32 3
		.amdhsa_float_denorm_mode_16_64 3
		.amdhsa_fp16_overflow 0
		.amdhsa_memory_ordered 1
		.amdhsa_forward_progress 1
		.amdhsa_inst_pref_size 5
		.amdhsa_round_robin_scheduling 0
		.amdhsa_exception_fp_ieee_invalid_op 0
		.amdhsa_exception_fp_denorm_src 0
		.amdhsa_exception_fp_ieee_div_zero 0
		.amdhsa_exception_fp_ieee_overflow 0
		.amdhsa_exception_fp_ieee_underflow 0
		.amdhsa_exception_fp_ieee_inexact 0
		.amdhsa_exception_int_div_zero 0
	.end_amdhsa_kernel
	.section	.text._ZN9rocsparseL49gtsv_nopivot_strided_batch_pcr_pow2_shared_kernelILj2E21rocsparse_complex_numIfEEEviiiPKT0_S5_S5_PS3_,"axG",@progbits,_ZN9rocsparseL49gtsv_nopivot_strided_batch_pcr_pow2_shared_kernelILj2E21rocsparse_complex_numIfEEEviiiPKT0_S5_S5_PS3_,comdat
.Lfunc_end42:
	.size	_ZN9rocsparseL49gtsv_nopivot_strided_batch_pcr_pow2_shared_kernelILj2E21rocsparse_complex_numIfEEEviiiPKT0_S5_S5_PS3_, .Lfunc_end42-_ZN9rocsparseL49gtsv_nopivot_strided_batch_pcr_pow2_shared_kernelILj2E21rocsparse_complex_numIfEEEviiiPKT0_S5_S5_PS3_
                                        ; -- End function
	.set _ZN9rocsparseL49gtsv_nopivot_strided_batch_pcr_pow2_shared_kernelILj2E21rocsparse_complex_numIfEEEviiiPKT0_S5_S5_PS3_.num_vgpr, 32
	.set _ZN9rocsparseL49gtsv_nopivot_strided_batch_pcr_pow2_shared_kernelILj2E21rocsparse_complex_numIfEEEviiiPKT0_S5_S5_PS3_.num_agpr, 0
	.set _ZN9rocsparseL49gtsv_nopivot_strided_batch_pcr_pow2_shared_kernelILj2E21rocsparse_complex_numIfEEEviiiPKT0_S5_S5_PS3_.numbered_sgpr, 12
	.set _ZN9rocsparseL49gtsv_nopivot_strided_batch_pcr_pow2_shared_kernelILj2E21rocsparse_complex_numIfEEEviiiPKT0_S5_S5_PS3_.num_named_barrier, 0
	.set _ZN9rocsparseL49gtsv_nopivot_strided_batch_pcr_pow2_shared_kernelILj2E21rocsparse_complex_numIfEEEviiiPKT0_S5_S5_PS3_.private_seg_size, 0
	.set _ZN9rocsparseL49gtsv_nopivot_strided_batch_pcr_pow2_shared_kernelILj2E21rocsparse_complex_numIfEEEviiiPKT0_S5_S5_PS3_.uses_vcc, 1
	.set _ZN9rocsparseL49gtsv_nopivot_strided_batch_pcr_pow2_shared_kernelILj2E21rocsparse_complex_numIfEEEviiiPKT0_S5_S5_PS3_.uses_flat_scratch, 0
	.set _ZN9rocsparseL49gtsv_nopivot_strided_batch_pcr_pow2_shared_kernelILj2E21rocsparse_complex_numIfEEEviiiPKT0_S5_S5_PS3_.has_dyn_sized_stack, 0
	.set _ZN9rocsparseL49gtsv_nopivot_strided_batch_pcr_pow2_shared_kernelILj2E21rocsparse_complex_numIfEEEviiiPKT0_S5_S5_PS3_.has_recursion, 0
	.set _ZN9rocsparseL49gtsv_nopivot_strided_batch_pcr_pow2_shared_kernelILj2E21rocsparse_complex_numIfEEEviiiPKT0_S5_S5_PS3_.has_indirect_call, 0
	.section	.AMDGPU.csdata,"",@progbits
; Kernel info:
; codeLenInByte = 640
; TotalNumSgprs: 14
; NumVgprs: 32
; ScratchSize: 0
; MemoryBound: 0
; FloatMode: 240
; IeeeMode: 1
; LDSByteSize: 152 bytes/workgroup (compile time only)
; SGPRBlocks: 0
; VGPRBlocks: 1
; NumSGPRsForWavesPerEU: 14
; NumVGPRsForWavesPerEU: 32
; NamedBarCnt: 0
; Occupancy: 16
; WaveLimiterHint : 0
; COMPUTE_PGM_RSRC2:SCRATCH_EN: 0
; COMPUTE_PGM_RSRC2:USER_SGPR: 2
; COMPUTE_PGM_RSRC2:TRAP_HANDLER: 0
; COMPUTE_PGM_RSRC2:TGID_X_EN: 1
; COMPUTE_PGM_RSRC2:TGID_Y_EN: 0
; COMPUTE_PGM_RSRC2:TGID_Z_EN: 0
; COMPUTE_PGM_RSRC2:TIDIG_COMP_CNT: 0
	.section	.text._ZN9rocsparseL49gtsv_nopivot_strided_batch_pcr_pow2_shared_kernelILj4E21rocsparse_complex_numIfEEEviiiPKT0_S5_S5_PS3_,"axG",@progbits,_ZN9rocsparseL49gtsv_nopivot_strided_batch_pcr_pow2_shared_kernelILj4E21rocsparse_complex_numIfEEEviiiPKT0_S5_S5_PS3_,comdat
	.globl	_ZN9rocsparseL49gtsv_nopivot_strided_batch_pcr_pow2_shared_kernelILj4E21rocsparse_complex_numIfEEEviiiPKT0_S5_S5_PS3_ ; -- Begin function _ZN9rocsparseL49gtsv_nopivot_strided_batch_pcr_pow2_shared_kernelILj4E21rocsparse_complex_numIfEEEviiiPKT0_S5_S5_PS3_
	.p2align	8
	.type	_ZN9rocsparseL49gtsv_nopivot_strided_batch_pcr_pow2_shared_kernelILj4E21rocsparse_complex_numIfEEEviiiPKT0_S5_S5_PS3_,@function
_ZN9rocsparseL49gtsv_nopivot_strided_batch_pcr_pow2_shared_kernelILj4E21rocsparse_complex_numIfEEEviiiPKT0_S5_S5_PS3_: ; @_ZN9rocsparseL49gtsv_nopivot_strided_batch_pcr_pow2_shared_kernelILj4E21rocsparse_complex_numIfEEEviiiPKT0_S5_S5_PS3_
; %bb.0:
	s_load_b32 s2, s[0:1], 0x8
	s_bfe_u32 s3, ttmp6, 0x4000c
	s_load_b256 s[4:11], s[0:1], 0x10
	s_add_co_i32 s3, s3, 1
	s_wait_xcnt 0x0
	s_and_b32 s0, ttmp6, 15
	s_mul_i32 s1, ttmp9, s3
	s_getreg_b32 s3, hwreg(HW_REG_IB_STS2, 6, 4)
	s_add_co_i32 s0, s0, s1
	s_cmp_eq_u32 s3, 0
	v_sub_nc_u32_e64 v1, v0, 1 clamp
	s_cselect_b32 s0, ttmp9, s0
	v_min_u32_e32 v3, 2, v0
	s_delay_alu instid0(VALU_DEP_2) | instskip(NEXT) | instid1(VALU_DEP_2)
	v_dual_lshlrev_b32 v2, 3, v0 :: v_dual_lshlrev_b32 v1, 3, v1
	v_lshlrev_b32_e32 v3, 3, v3
	s_wait_kmcnt 0x0
	v_mad_u32 v28, s2, s0, v0
	s_clause 0x3
	global_load_b64 v[4:5], v28, s[4:5] scale_offset
	global_load_b64 v[6:7], v28, s[6:7] scale_offset
	;; [unrolled: 1-line block ×4, first 2 shown]
	s_wait_loadcnt 0x2
	ds_store_2addr_b64 v2, v[4:5], v[6:7] offset1:6
	s_wait_loadcnt 0x0
	ds_store_2addr_b64 v2, v[8:9], v[10:11] offset0:12 offset1:24
	s_wait_dscnt 0x0
	; wave barrier
	ds_load_2addr_b64 v[4:7], v1 offset1:6
	ds_load_2addr_b64 v[8:11], v3 offset0:1 offset1:7
	ds_load_2addr_b64 v[12:15], v2 offset1:6
	ds_load_2addr_b64 v[16:19], v2 offset0:12 offset1:24
	s_wait_dscnt 0x2
	v_mul_f32_e32 v30, v11, v11
	s_delay_alu instid0(VALU_DEP_1) | instskip(NEXT) | instid1(VALU_DEP_1)
	v_dual_mul_f32 v29, v7, v7 :: v_dual_fmac_f32 v30, v10, v10
	v_fmac_f32_e32 v29, v6, v6
	s_delay_alu instid0(VALU_DEP_2) | instskip(NEXT) | instid1(VALU_DEP_2)
	v_div_scale_f32 v32, null, v30, v30, 1.0
	v_div_scale_f32 v31, null, v29, v29, 1.0
	v_div_scale_f32 v35, vcc_lo, 1.0, v29, 1.0
	s_delay_alu instid0(VALU_DEP_3) | instskip(NEXT) | instid1(VALU_DEP_2)
	v_rcp_f32_e32 v34, v32
	v_rcp_f32_e32 v33, v31
	v_div_scale_f32 v36, s0, 1.0, v30, 1.0
	s_delay_alu instid0(TRANS32_DEP_2) | instskip(NEXT) | instid1(TRANS32_DEP_1)
	v_fma_f32 v21, -v32, v34, 1.0
	v_fma_f32 v20, -v31, v33, 1.0
	s_delay_alu instid0(VALU_DEP_1) | instskip(SKIP_4) | instid1(VALU_DEP_1)
	v_dual_fmac_f32 v33, v20, v33 :: v_dual_fmac_f32 v34, v21, v34
	ds_load_2addr_b64 v[20:23], v1 offset0:12 offset1:24
	ds_load_2addr_b64 v[24:27], v3 offset0:13 offset1:25
	s_wait_dscnt 0x0
	; wave barrier
	v_dual_mul_f32 v37, v35, v33 :: v_dual_mul_f32 v38, v36, v34
	v_dual_fma_f32 v39, -v31, v37, v35 :: v_dual_fma_f32 v40, -v32, v38, v36
	s_delay_alu instid0(VALU_DEP_1) | instskip(NEXT) | instid1(VALU_DEP_2)
	v_fmac_f32_e32 v37, v39, v33
	v_dual_mul_f32 v1, v7, v13 :: v_dual_fmac_f32 v38, v40, v34
	v_mul_f32_e64 v3, v7, -v12
	v_dual_mul_f32 v7, v11, v17 :: v_dual_mul_f32 v11, v11, -v16
	s_delay_alu instid0(VALU_DEP_3) | instskip(NEXT) | instid1(VALU_DEP_4)
	v_dual_fma_f32 v31, -v31, v37, v35 :: v_dual_fmac_f32 v1, v12, v6
	v_fma_f32 v32, -v32, v38, v36
	s_delay_alu instid0(VALU_DEP_4) | instskip(NEXT) | instid1(VALU_DEP_3)
	v_fmac_f32_e32 v3, v13, v6
	v_div_fmas_f32 v31, v31, v33, v37
	s_mov_b32 vcc_lo, s0
	s_delay_alu instid0(VALU_DEP_3) | instskip(SKIP_1) | instid1(VALU_DEP_3)
	v_div_fmas_f32 v32, v32, v34, v38
	v_cmp_gt_u32_e32 vcc_lo, 2, v0
	v_div_fixup_f32 v13, v31, v29, 1.0
	v_ashrrev_i32_e32 v29, 31, v28
	s_delay_alu instid0(VALU_DEP_4) | instskip(NEXT) | instid1(VALU_DEP_3)
	v_div_fixup_f32 v12, v32, v30, 1.0
	v_mul_f32_e32 v0, v13, v1
	v_dual_fmac_f32 v11, v17, v10 :: v_dual_mul_f32 v6, v3, v13
	s_delay_alu instid0(VALU_DEP_1) | instskip(NEXT) | instid1(VALU_DEP_1)
	v_dual_fmac_f32 v7, v16, v10 :: v_dual_mul_f32 v10, v11, v12
	v_pk_mul_f32 v[16:17], v[6:7], v[20:21] op_sel:[0,1] op_sel_hi:[0,0] neg_lo:[0,1]
	v_pk_mul_f32 v[30:31], v[6:7], v[22:23] op_sel:[0,1] op_sel_hi:[0,0] neg_lo:[0,1]
	v_mul_f32_e32 v12, v12, v7
	s_delay_alu instid0(VALU_DEP_4)
	v_pk_mul_f32 v[32:33], v[10:11], v[8:9] op_sel:[0,1] op_sel_hi:[0,0] neg_lo:[0,1]
	v_pk_mul_f32 v[34:35], v[10:11], v[26:27] op_sel:[0,1] op_sel_hi:[0,0] neg_lo:[0,1]
	v_pk_fma_f32 v[16:17], v[20:21], v[0:1], v[16:17] op_sel_hi:[1,0,1]
	v_pk_fma_f32 v[20:21], v[22:23], v[0:1], v[30:31] op_sel_hi:[1,0,1]
	v_pk_mul_f32 v[6:7], v[6:7], v[4:5] op_sel:[0,1] op_sel_hi:[0,0] neg_hi:[0,1]
	v_pk_fma_f32 v[8:9], v[8:9], v[12:13], v[32:33] op_sel_hi:[1,0,1]
	v_pk_mul_f32 v[10:11], v[10:11], v[24:25] op_sel:[0,1] op_sel_hi:[0,0] neg_hi:[0,1]
	v_pk_add_f32 v[14:15], v[14:15], v[16:17] neg_lo:[0,1] neg_hi:[0,1]
	v_pk_fma_f32 v[22:23], v[26:27], v[12:13], v[34:35] op_sel_hi:[1,0,1]
	v_pk_add_f32 v[16:17], v[18:19], v[20:21] neg_lo:[0,1] neg_hi:[0,1]
	v_pk_fma_f32 v[4:5], v[4:5], v[0:1], v[6:7] op_sel_hi:[1,0,1] neg_lo:[1,0,0] neg_hi:[1,0,0]
	v_lshl_add_u64 v[0:1], v[28:29], 3, s[10:11]
	v_pk_add_f32 v[8:9], v[14:15], v[8:9] neg_lo:[0,1] neg_hi:[0,1]
	v_pk_fma_f32 v[6:7], v[24:25], v[12:13], v[10:11] op_sel_hi:[1,0,1] neg_lo:[1,0,0] neg_hi:[1,0,0]
	v_pk_add_f32 v[10:11], v[16:17], v[22:23] neg_lo:[0,1] neg_hi:[0,1]
	ds_store_2addr_b64 v2, v[4:5], v[8:9] offset1:6
	ds_store_2addr_b64 v2, v[6:7], v[10:11] offset0:12 offset1:24
	s_wait_dscnt 0x0
	; wave barrier
	s_and_saveexec_b32 s0, vcc_lo
	s_cbranch_execz .LBB43_2
; %bb.1:
	v_add_nc_u32_e32 v3, 48, v2
	v_or_b32_e32 v8, 0x60, v2
	v_or_b32_e32 v11, 0xc0, v2
	ds_load_2addr_b64 v[4:7], v3 offset1:2
	ds_load_b64 v[8:9], v8
	ds_load_b32 v10, v11
	ds_load_b64 v[12:13], v11
	ds_load_b64 v[14:15], v2 offset:16
	s_wait_dscnt 0x4
	v_pk_mul_f32 v[16:17], v[4:5], v[6:7] op_sel:[1,1] op_sel_hi:[1,0] neg_lo:[0,1]
	s_wait_dscnt 0x0
	v_pk_mul_f32 v[18:19], v[14:15], v[8:9] op_sel:[1,1] op_sel_hi:[1,0] neg_lo:[0,1]
	s_delay_alu instid0(VALU_DEP_2) | instskip(SKIP_1) | instid1(VALU_DEP_3)
	v_pk_fma_f32 v[16:17], v[6:7], v[4:5], v[16:17] op_sel_hi:[1,0,1]
	v_pk_mul_f32 v[28:29], v[14:15], v[12:13] op_sel:[1,1] op_sel_hi:[1,0] neg_lo:[0,1]
	v_pk_fma_f32 v[18:19], v[8:9], v[14:15], v[18:19] op_sel_hi:[1,0,1]
	s_delay_alu instid0(VALU_DEP_1) | instskip(SKIP_4) | instid1(VALU_DEP_1)
	v_pk_add_f32 v[16:17], v[16:17], v[18:19] neg_lo:[0,1] neg_hi:[0,1]
	ds_load_2addr_b32 v[18:19], v11 offset0:1 offset1:4
	ds_load_b32 v20, v11 offset:20
	ds_load_b64 v[22:23], v11 offset:16
	v_mul_f32_e32 v3, v17, v17
	v_fmac_f32_e32 v3, v16, v16
	s_delay_alu instid0(VALU_DEP_1) | instskip(SKIP_2) | instid1(VALU_DEP_2)
	v_div_scale_f32 v26, null, v3, v3, 1.0
	s_wait_dscnt 0x2
	v_pk_mul_f32 v[24:25], v[18:19], v[6:7] op_sel:[0,1] op_sel_hi:[0,0] neg_lo:[0,1]
	v_rcp_f32_e32 v30, v26
	v_mov_b32_e32 v18, v19
	s_delay_alu instid0(TRANS32_DEP_1) | instskip(NEXT) | instid1(VALU_DEP_1)
	v_fma_f32 v21, -v26, v30, 1.0
	v_fmac_f32_e32 v30, v21, v30
	v_div_scale_f32 v27, vcc_lo, 1.0, v3, 1.0
	s_delay_alu instid0(VALU_DEP_1) | instskip(NEXT) | instid1(VALU_DEP_1)
	v_mul_f32_e32 v11, v27, v30
	v_fma_f32 v21, -v26, v11, v27
	s_delay_alu instid0(VALU_DEP_1) | instskip(SKIP_2) | instid1(VALU_DEP_2)
	v_fmac_f32_e32 v11, v21, v30
	s_wait_dscnt 0x1
	v_pk_mul_f32 v[20:21], v[20:21], v[8:9] op_sel:[0,1] op_sel_hi:[0,0] neg_lo:[0,1]
	v_fma_f32 v19, -v26, v11, v27
	s_wait_dscnt 0x0
	v_pk_mul_f32 v[26:27], v[4:5], v[22:23] op_sel:[1,1] op_sel_hi:[1,0] neg_lo:[0,1]
	s_delay_alu instid0(VALU_DEP_2) | instskip(SKIP_1) | instid1(VALU_DEP_3)
	v_div_fmas_f32 v11, v19, v30, v11
	v_pk_fma_f32 v[8:9], v[8:9], v[18:19], v[20:21] op_sel_hi:[1,0,1]
	v_pk_fma_f32 v[4:5], v[22:23], v[4:5], v[26:27] op_sel_hi:[1,0,1]
	v_fma_f32 v18, v16, 0, -v17
	s_delay_alu instid0(VALU_DEP_4) | instskip(SKIP_2) | instid1(VALU_DEP_3)
	v_pk_fma_f32 v[6:7], v[6:7], v[10:11], v[24:25] op_sel_hi:[1,0,1]
	v_div_fixup_f32 v3, v11, v3, 1.0
	v_pk_fma_f32 v[10:11], v[12:13], v[14:15], v[28:29] op_sel_hi:[1,0,1]
	v_pk_add_f32 v[6:7], v[6:7], v[8:9] neg_lo:[0,1] neg_hi:[0,1]
	s_delay_alu instid0(VALU_DEP_3) | instskip(NEXT) | instid1(VALU_DEP_3)
	v_dual_fma_f32 v9, 0, v17, v16 :: v_dual_mul_f32 v8, v18, v3
	v_pk_add_f32 v[4:5], v[4:5], v[10:11] neg_lo:[0,1] neg_hi:[0,1]
	s_delay_alu instid0(VALU_DEP_2) | instskip(NEXT) | instid1(VALU_DEP_3)
	v_mul_f32_e32 v10, v9, v3
	v_pk_mul_f32 v[12:13], v[8:9], v[6:7] op_sel:[0,1] op_sel_hi:[0,0] neg_lo:[0,1]
	s_delay_alu instid0(VALU_DEP_3) | instskip(NEXT) | instid1(VALU_DEP_2)
	v_pk_mul_f32 v[8:9], v[8:9], v[4:5] op_sel:[0,1] op_sel_hi:[0,0] neg_lo:[0,1]
	v_pk_fma_f32 v[6:7], v[6:7], v[10:11], v[12:13] op_sel_hi:[1,0,1]
	s_delay_alu instid0(VALU_DEP_2)
	v_pk_fma_f32 v[4:5], v[4:5], v[10:11], v[8:9] op_sel_hi:[1,0,1]
	ds_store_2addr_b64 v2, v[6:7], v[4:5] offset0:18 offset1:20
.LBB43_2:
	s_or_b32 exec_lo, exec_lo, s0
	s_wait_dscnt 0x0
	; wave barrier
	ds_load_b64 v[2:3], v2 offset:144
	s_wait_dscnt 0x0
	global_store_b64 v[0:1], v[2:3], off
	s_endpgm
	.section	.rodata,"a",@progbits
	.p2align	6, 0x0
	.amdhsa_kernel _ZN9rocsparseL49gtsv_nopivot_strided_batch_pcr_pow2_shared_kernelILj4E21rocsparse_complex_numIfEEEviiiPKT0_S5_S5_PS3_
		.amdhsa_group_segment_fixed_size 232
		.amdhsa_private_segment_fixed_size 0
		.amdhsa_kernarg_size 48
		.amdhsa_user_sgpr_count 2
		.amdhsa_user_sgpr_dispatch_ptr 0
		.amdhsa_user_sgpr_queue_ptr 0
		.amdhsa_user_sgpr_kernarg_segment_ptr 1
		.amdhsa_user_sgpr_dispatch_id 0
		.amdhsa_user_sgpr_kernarg_preload_length 0
		.amdhsa_user_sgpr_kernarg_preload_offset 0
		.amdhsa_user_sgpr_private_segment_size 0
		.amdhsa_wavefront_size32 1
		.amdhsa_uses_dynamic_stack 0
		.amdhsa_enable_private_segment 0
		.amdhsa_system_sgpr_workgroup_id_x 1
		.amdhsa_system_sgpr_workgroup_id_y 0
		.amdhsa_system_sgpr_workgroup_id_z 0
		.amdhsa_system_sgpr_workgroup_info 0
		.amdhsa_system_vgpr_workitem_id 0
		.amdhsa_next_free_vgpr 41
		.amdhsa_next_free_sgpr 12
		.amdhsa_named_barrier_count 0
		.amdhsa_reserve_vcc 1
		.amdhsa_float_round_mode_32 0
		.amdhsa_float_round_mode_16_64 0
		.amdhsa_float_denorm_mode_32 3
		.amdhsa_float_denorm_mode_16_64 3
		.amdhsa_fp16_overflow 0
		.amdhsa_memory_ordered 1
		.amdhsa_forward_progress 1
		.amdhsa_inst_pref_size 9
		.amdhsa_round_robin_scheduling 0
		.amdhsa_exception_fp_ieee_invalid_op 0
		.amdhsa_exception_fp_denorm_src 0
		.amdhsa_exception_fp_ieee_div_zero 0
		.amdhsa_exception_fp_ieee_overflow 0
		.amdhsa_exception_fp_ieee_underflow 0
		.amdhsa_exception_fp_ieee_inexact 0
		.amdhsa_exception_int_div_zero 0
	.end_amdhsa_kernel
	.section	.text._ZN9rocsparseL49gtsv_nopivot_strided_batch_pcr_pow2_shared_kernelILj4E21rocsparse_complex_numIfEEEviiiPKT0_S5_S5_PS3_,"axG",@progbits,_ZN9rocsparseL49gtsv_nopivot_strided_batch_pcr_pow2_shared_kernelILj4E21rocsparse_complex_numIfEEEviiiPKT0_S5_S5_PS3_,comdat
.Lfunc_end43:
	.size	_ZN9rocsparseL49gtsv_nopivot_strided_batch_pcr_pow2_shared_kernelILj4E21rocsparse_complex_numIfEEEviiiPKT0_S5_S5_PS3_, .Lfunc_end43-_ZN9rocsparseL49gtsv_nopivot_strided_batch_pcr_pow2_shared_kernelILj4E21rocsparse_complex_numIfEEEviiiPKT0_S5_S5_PS3_
                                        ; -- End function
	.set _ZN9rocsparseL49gtsv_nopivot_strided_batch_pcr_pow2_shared_kernelILj4E21rocsparse_complex_numIfEEEviiiPKT0_S5_S5_PS3_.num_vgpr, 41
	.set _ZN9rocsparseL49gtsv_nopivot_strided_batch_pcr_pow2_shared_kernelILj4E21rocsparse_complex_numIfEEEviiiPKT0_S5_S5_PS3_.num_agpr, 0
	.set _ZN9rocsparseL49gtsv_nopivot_strided_batch_pcr_pow2_shared_kernelILj4E21rocsparse_complex_numIfEEEviiiPKT0_S5_S5_PS3_.numbered_sgpr, 12
	.set _ZN9rocsparseL49gtsv_nopivot_strided_batch_pcr_pow2_shared_kernelILj4E21rocsparse_complex_numIfEEEviiiPKT0_S5_S5_PS3_.num_named_barrier, 0
	.set _ZN9rocsparseL49gtsv_nopivot_strided_batch_pcr_pow2_shared_kernelILj4E21rocsparse_complex_numIfEEEviiiPKT0_S5_S5_PS3_.private_seg_size, 0
	.set _ZN9rocsparseL49gtsv_nopivot_strided_batch_pcr_pow2_shared_kernelILj4E21rocsparse_complex_numIfEEEviiiPKT0_S5_S5_PS3_.uses_vcc, 1
	.set _ZN9rocsparseL49gtsv_nopivot_strided_batch_pcr_pow2_shared_kernelILj4E21rocsparse_complex_numIfEEEviiiPKT0_S5_S5_PS3_.uses_flat_scratch, 0
	.set _ZN9rocsparseL49gtsv_nopivot_strided_batch_pcr_pow2_shared_kernelILj4E21rocsparse_complex_numIfEEEviiiPKT0_S5_S5_PS3_.has_dyn_sized_stack, 0
	.set _ZN9rocsparseL49gtsv_nopivot_strided_batch_pcr_pow2_shared_kernelILj4E21rocsparse_complex_numIfEEEviiiPKT0_S5_S5_PS3_.has_recursion, 0
	.set _ZN9rocsparseL49gtsv_nopivot_strided_batch_pcr_pow2_shared_kernelILj4E21rocsparse_complex_numIfEEEviiiPKT0_S5_S5_PS3_.has_indirect_call, 0
	.section	.AMDGPU.csdata,"",@progbits
; Kernel info:
; codeLenInByte = 1128
; TotalNumSgprs: 14
; NumVgprs: 41
; ScratchSize: 0
; MemoryBound: 0
; FloatMode: 240
; IeeeMode: 1
; LDSByteSize: 232 bytes/workgroup (compile time only)
; SGPRBlocks: 0
; VGPRBlocks: 2
; NumSGPRsForWavesPerEU: 14
; NumVGPRsForWavesPerEU: 41
; NamedBarCnt: 0
; Occupancy: 16
; WaveLimiterHint : 0
; COMPUTE_PGM_RSRC2:SCRATCH_EN: 0
; COMPUTE_PGM_RSRC2:USER_SGPR: 2
; COMPUTE_PGM_RSRC2:TRAP_HANDLER: 0
; COMPUTE_PGM_RSRC2:TGID_X_EN: 1
; COMPUTE_PGM_RSRC2:TGID_Y_EN: 0
; COMPUTE_PGM_RSRC2:TGID_Z_EN: 0
; COMPUTE_PGM_RSRC2:TIDIG_COMP_CNT: 0
	.section	.text._ZN9rocsparseL49gtsv_nopivot_strided_batch_pcr_pow2_shared_kernelILj8E21rocsparse_complex_numIfEEEviiiPKT0_S5_S5_PS3_,"axG",@progbits,_ZN9rocsparseL49gtsv_nopivot_strided_batch_pcr_pow2_shared_kernelILj8E21rocsparse_complex_numIfEEEviiiPKT0_S5_S5_PS3_,comdat
	.globl	_ZN9rocsparseL49gtsv_nopivot_strided_batch_pcr_pow2_shared_kernelILj8E21rocsparse_complex_numIfEEEviiiPKT0_S5_S5_PS3_ ; -- Begin function _ZN9rocsparseL49gtsv_nopivot_strided_batch_pcr_pow2_shared_kernelILj8E21rocsparse_complex_numIfEEEviiiPKT0_S5_S5_PS3_
	.p2align	8
	.type	_ZN9rocsparseL49gtsv_nopivot_strided_batch_pcr_pow2_shared_kernelILj8E21rocsparse_complex_numIfEEEviiiPKT0_S5_S5_PS3_,@function
_ZN9rocsparseL49gtsv_nopivot_strided_batch_pcr_pow2_shared_kernelILj8E21rocsparse_complex_numIfEEEviiiPKT0_S5_S5_PS3_: ; @_ZN9rocsparseL49gtsv_nopivot_strided_batch_pcr_pow2_shared_kernelILj8E21rocsparse_complex_numIfEEEviiiPKT0_S5_S5_PS3_
; %bb.0:
	s_load_b32 s2, s[0:1], 0x8
	s_bfe_u32 s3, ttmp6, 0x4000c
	s_load_b256 s[4:11], s[0:1], 0x10
	s_add_co_i32 s3, s3, 1
	s_wait_xcnt 0x0
	s_and_b32 s0, ttmp6, 15
	s_mul_i32 s1, ttmp9, s3
	s_getreg_b32 s3, hwreg(HW_REG_IB_STS2, 6, 4)
	s_add_co_i32 s0, s0, s1
	s_cmp_eq_u32 s3, 0
	v_sub_nc_u32_e64 v1, v0, 1 clamp
	s_cselect_b32 s0, ttmp9, s0
	v_min_u32_e32 v3, 6, v0
	v_lshlrev_b32_e32 v2, 3, v0
	v_min_u32_e32 v40, 5, v0
	s_delay_alu instid0(VALU_DEP_3)
	v_dual_lshlrev_b32 v1, 3, v1 :: v_dual_lshlrev_b32 v3, 3, v3
	s_wait_kmcnt 0x0
	v_mad_u32 v28, s2, s0, v0
	s_clause 0x3
	global_load_b64 v[4:5], v28, s[4:5] scale_offset
	global_load_b64 v[6:7], v28, s[6:7] scale_offset
	;; [unrolled: 1-line block ×4, first 2 shown]
	s_wait_loadcnt 0x2
	ds_store_2addr_b64 v2, v[4:5], v[6:7] offset1:10
	s_wait_loadcnt 0x0
	ds_store_2addr_b64 v2, v[8:9], v[10:11] offset0:20 offset1:40
	s_wait_dscnt 0x0
	; wave barrier
	ds_load_2addr_b64 v[4:7], v1 offset1:10
	ds_load_2addr_b64 v[8:11], v3 offset0:1 offset1:11
	ds_load_2addr_b64 v[12:15], v2 offset1:10
	ds_load_2addr_b64 v[16:19], v2 offset0:20 offset1:40
	s_wait_dscnt 0x2
	v_mul_f32_e32 v30, v11, v11
	s_delay_alu instid0(VALU_DEP_1) | instskip(NEXT) | instid1(VALU_DEP_1)
	v_dual_mul_f32 v29, v7, v7 :: v_dual_fmac_f32 v30, v10, v10
	v_fmac_f32_e32 v29, v6, v6
	s_delay_alu instid0(VALU_DEP_2) | instskip(NEXT) | instid1(VALU_DEP_2)
	v_div_scale_f32 v32, null, v30, v30, 1.0
	v_div_scale_f32 v31, null, v29, v29, 1.0
	v_div_scale_f32 v35, vcc_lo, 1.0, v29, 1.0
	s_delay_alu instid0(VALU_DEP_3) | instskip(NEXT) | instid1(VALU_DEP_2)
	v_rcp_f32_e32 v34, v32
	v_rcp_f32_e32 v33, v31
	v_div_scale_f32 v36, s0, 1.0, v30, 1.0
	s_delay_alu instid0(TRANS32_DEP_2) | instskip(NEXT) | instid1(TRANS32_DEP_1)
	v_fma_f32 v21, -v32, v34, 1.0
	v_fma_f32 v20, -v31, v33, 1.0
	s_delay_alu instid0(VALU_DEP_1) | instskip(SKIP_4) | instid1(VALU_DEP_1)
	v_dual_fmac_f32 v33, v20, v33 :: v_dual_fmac_f32 v34, v21, v34
	ds_load_2addr_b64 v[20:23], v1 offset0:20 offset1:40
	ds_load_2addr_b64 v[24:27], v3 offset0:21 offset1:41
	s_wait_dscnt 0x0
	; wave barrier
	v_dual_mul_f32 v37, v35, v33 :: v_dual_mul_f32 v38, v36, v34
	v_dual_fma_f32 v39, -v31, v37, v35 :: v_dual_fma_f32 v41, -v32, v38, v36
	s_delay_alu instid0(VALU_DEP_1) | instskip(NEXT) | instid1(VALU_DEP_2)
	v_fmac_f32_e32 v37, v39, v33
	v_dual_mul_f32 v1, v7, v13 :: v_dual_fmac_f32 v38, v41, v34
	v_mul_f32_e64 v3, v7, -v12
	v_dual_mul_f32 v7, v11, v17 :: v_dual_mul_f32 v11, v11, -v16
	s_delay_alu instid0(VALU_DEP_3) | instskip(NEXT) | instid1(VALU_DEP_4)
	v_dual_fma_f32 v31, -v31, v37, v35 :: v_dual_fmac_f32 v1, v12, v6
	v_fma_f32 v32, -v32, v38, v36
	s_delay_alu instid0(VALU_DEP_4) | instskip(NEXT) | instid1(VALU_DEP_3)
	v_fmac_f32_e32 v3, v13, v6
	v_div_fmas_f32 v31, v31, v33, v37
	s_mov_b32 vcc_lo, s0
	s_delay_alu instid0(VALU_DEP_3) | instskip(NEXT) | instid1(VALU_DEP_2)
	v_div_fmas_f32 v32, v32, v34, v38
	v_div_fixup_f32 v13, v31, v29, 1.0
	v_fmac_f32_e32 v11, v17, v10
	s_delay_alu instid0(VALU_DEP_3) | instskip(NEXT) | instid1(VALU_DEP_3)
	v_div_fixup_f32 v17, v32, v30, 1.0
	v_dual_fmac_f32 v7, v16, v10 :: v_dual_mul_f32 v10, v13, v1
	v_mul_f32_e32 v6, v3, v13
	v_sub_nc_u32_e64 v3, v0, 2 clamp
	s_delay_alu instid0(VALU_DEP_3) | instskip(NEXT) | instid1(VALU_DEP_3)
	v_dual_mul_f32 v12, v11, v17 :: v_dual_mul_f32 v16, v17, v7
	v_pk_mul_f32 v[30:31], v[6:7], v[20:21] op_sel:[0,1] op_sel_hi:[0,0] neg_lo:[0,1]
	v_pk_mul_f32 v[32:33], v[6:7], v[22:23] op_sel:[0,1] op_sel_hi:[0,0] neg_lo:[0,1]
	s_delay_alu instid0(VALU_DEP_3)
	v_pk_mul_f32 v[34:35], v[12:13], v[8:9] op_sel:[0,1] op_sel_hi:[0,0] neg_lo:[0,1]
	v_pk_mul_f32 v[36:37], v[12:13], v[26:27] op_sel:[0,1] op_sel_hi:[0,0] neg_lo:[0,1]
	v_pk_mul_f32 v[6:7], v[6:7], v[4:5] op_sel:[0,1] op_sel_hi:[0,0] neg_hi:[0,1]
	v_pk_fma_f32 v[20:21], v[20:21], v[10:11], v[30:31] op_sel_hi:[1,0,1]
	v_pk_fma_f32 v[22:23], v[22:23], v[10:11], v[32:33] op_sel_hi:[1,0,1]
	v_dual_lshlrev_b32 v1, 3, v3 :: v_dual_lshlrev_b32 v3, 3, v40
	v_pk_fma_f32 v[8:9], v[8:9], v[16:17], v[34:35] op_sel_hi:[1,0,1]
	s_delay_alu instid0(VALU_DEP_4)
	v_pk_add_f32 v[14:15], v[14:15], v[20:21] neg_lo:[0,1] neg_hi:[0,1]
	v_pk_mul_f32 v[12:13], v[12:13], v[24:25] op_sel:[0,1] op_sel_hi:[0,0] neg_hi:[0,1]
	v_pk_fma_f32 v[26:27], v[26:27], v[16:17], v[36:37] op_sel_hi:[1,0,1]
	v_pk_add_f32 v[18:19], v[18:19], v[22:23] neg_lo:[0,1] neg_hi:[0,1]
	v_pk_fma_f32 v[4:5], v[4:5], v[10:11], v[6:7] op_sel_hi:[1,0,1] neg_lo:[1,0,0] neg_hi:[1,0,0]
	v_pk_add_f32 v[8:9], v[14:15], v[8:9] neg_lo:[0,1] neg_hi:[0,1]
	v_pk_fma_f32 v[6:7], v[24:25], v[16:17], v[12:13] op_sel_hi:[1,0,1] neg_lo:[1,0,0] neg_hi:[1,0,0]
	s_delay_alu instid0(VALU_DEP_4)
	v_pk_add_f32 v[10:11], v[18:19], v[26:27] neg_lo:[0,1] neg_hi:[0,1]
	ds_store_2addr_b64 v2, v[4:5], v[8:9] offset1:10
	ds_store_2addr_b64 v2, v[6:7], v[10:11] offset0:20 offset1:40
	s_wait_dscnt 0x0
	; wave barrier
	ds_load_2addr_b64 v[4:7], v1 offset1:10
	ds_load_2addr_b64 v[8:11], v3 offset0:2 offset1:12
	ds_load_2addr_b64 v[12:15], v2 offset1:10
	ds_load_2addr_b64 v[16:19], v2 offset0:20 offset1:40
	s_wait_dscnt 0x2
	v_mul_f32_e32 v30, v11, v11
	s_delay_alu instid0(VALU_DEP_1) | instskip(NEXT) | instid1(VALU_DEP_1)
	v_dual_mul_f32 v29, v7, v7 :: v_dual_fmac_f32 v30, v10, v10
	v_fmac_f32_e32 v29, v6, v6
	s_delay_alu instid0(VALU_DEP_2) | instskip(NEXT) | instid1(VALU_DEP_2)
	v_div_scale_f32 v32, null, v30, v30, 1.0
	v_div_scale_f32 v31, null, v29, v29, 1.0
	v_div_scale_f32 v35, vcc_lo, 1.0, v29, 1.0
	s_delay_alu instid0(VALU_DEP_3) | instskip(NEXT) | instid1(VALU_DEP_2)
	v_rcp_f32_e32 v34, v32
	v_rcp_f32_e32 v33, v31
	v_div_scale_f32 v36, s0, 1.0, v30, 1.0
	s_delay_alu instid0(TRANS32_DEP_2) | instskip(NEXT) | instid1(TRANS32_DEP_1)
	v_fma_f32 v21, -v32, v34, 1.0
	v_fma_f32 v20, -v31, v33, 1.0
	s_delay_alu instid0(VALU_DEP_1) | instskip(SKIP_4) | instid1(VALU_DEP_1)
	v_dual_fmac_f32 v33, v20, v33 :: v_dual_fmac_f32 v34, v21, v34
	ds_load_2addr_b64 v[20:23], v1 offset0:20 offset1:40
	ds_load_2addr_b64 v[24:27], v3 offset0:22 offset1:42
	s_wait_dscnt 0x0
	; wave barrier
	v_dual_mul_f32 v37, v35, v33 :: v_dual_mul_f32 v38, v36, v34
	v_dual_fma_f32 v39, -v31, v37, v35 :: v_dual_fma_f32 v40, -v32, v38, v36
	s_delay_alu instid0(VALU_DEP_1) | instskip(NEXT) | instid1(VALU_DEP_2)
	v_fmac_f32_e32 v37, v39, v33
	v_dual_mul_f32 v1, v7, v13 :: v_dual_fmac_f32 v38, v40, v34
	v_mul_f32_e64 v3, v7, -v12
	v_dual_mul_f32 v7, v11, v17 :: v_dual_mul_f32 v11, v11, -v16
	s_delay_alu instid0(VALU_DEP_3) | instskip(NEXT) | instid1(VALU_DEP_4)
	v_dual_fma_f32 v31, -v31, v37, v35 :: v_dual_fmac_f32 v1, v12, v6
	v_fma_f32 v32, -v32, v38, v36
	s_delay_alu instid0(VALU_DEP_4) | instskip(NEXT) | instid1(VALU_DEP_3)
	v_fmac_f32_e32 v3, v13, v6
	v_div_fmas_f32 v31, v31, v33, v37
	s_mov_b32 vcc_lo, s0
	s_delay_alu instid0(VALU_DEP_3) | instskip(SKIP_1) | instid1(VALU_DEP_3)
	v_div_fmas_f32 v32, v32, v34, v38
	v_cmp_gt_u32_e32 vcc_lo, 4, v0
	v_div_fixup_f32 v13, v31, v29, 1.0
	v_ashrrev_i32_e32 v29, 31, v28
	s_delay_alu instid0(VALU_DEP_4) | instskip(NEXT) | instid1(VALU_DEP_3)
	v_div_fixup_f32 v12, v32, v30, 1.0
	v_mul_f32_e32 v0, v13, v1
	v_dual_fmac_f32 v11, v17, v10 :: v_dual_mul_f32 v6, v3, v13
	s_delay_alu instid0(VALU_DEP_1) | instskip(NEXT) | instid1(VALU_DEP_1)
	v_dual_fmac_f32 v7, v16, v10 :: v_dual_mul_f32 v10, v11, v12
	v_pk_mul_f32 v[16:17], v[6:7], v[20:21] op_sel:[0,1] op_sel_hi:[0,0] neg_lo:[0,1]
	v_pk_mul_f32 v[30:31], v[6:7], v[22:23] op_sel:[0,1] op_sel_hi:[0,0] neg_lo:[0,1]
	v_mul_f32_e32 v12, v12, v7
	s_delay_alu instid0(VALU_DEP_4)
	v_pk_mul_f32 v[32:33], v[10:11], v[8:9] op_sel:[0,1] op_sel_hi:[0,0] neg_lo:[0,1]
	v_pk_mul_f32 v[34:35], v[10:11], v[26:27] op_sel:[0,1] op_sel_hi:[0,0] neg_lo:[0,1]
	v_pk_fma_f32 v[16:17], v[20:21], v[0:1], v[16:17] op_sel_hi:[1,0,1]
	v_pk_fma_f32 v[20:21], v[22:23], v[0:1], v[30:31] op_sel_hi:[1,0,1]
	v_pk_mul_f32 v[6:7], v[6:7], v[4:5] op_sel:[0,1] op_sel_hi:[0,0] neg_hi:[0,1]
	v_pk_fma_f32 v[8:9], v[8:9], v[12:13], v[32:33] op_sel_hi:[1,0,1]
	v_pk_mul_f32 v[10:11], v[10:11], v[24:25] op_sel:[0,1] op_sel_hi:[0,0] neg_hi:[0,1]
	v_pk_add_f32 v[14:15], v[14:15], v[16:17] neg_lo:[0,1] neg_hi:[0,1]
	v_pk_fma_f32 v[22:23], v[26:27], v[12:13], v[34:35] op_sel_hi:[1,0,1]
	v_pk_add_f32 v[16:17], v[18:19], v[20:21] neg_lo:[0,1] neg_hi:[0,1]
	v_pk_fma_f32 v[4:5], v[4:5], v[0:1], v[6:7] op_sel_hi:[1,0,1] neg_lo:[1,0,0] neg_hi:[1,0,0]
	v_lshl_add_u64 v[0:1], v[28:29], 3, s[10:11]
	v_pk_add_f32 v[8:9], v[14:15], v[8:9] neg_lo:[0,1] neg_hi:[0,1]
	v_pk_fma_f32 v[6:7], v[24:25], v[12:13], v[10:11] op_sel_hi:[1,0,1] neg_lo:[1,0,0] neg_hi:[1,0,0]
	v_pk_add_f32 v[10:11], v[16:17], v[22:23] neg_lo:[0,1] neg_hi:[0,1]
	ds_store_2addr_b64 v2, v[4:5], v[8:9] offset1:10
	ds_store_2addr_b64 v2, v[6:7], v[10:11] offset0:20 offset1:40
	s_wait_dscnt 0x0
	; wave barrier
	s_and_saveexec_b32 s0, vcc_lo
	s_cbranch_execz .LBB44_2
; %bb.1:
	v_add_nc_u32_e32 v3, 0x50, v2
	v_add_nc_u32_e32 v8, 0xa0, v2
	v_or_b32_e32 v11, 0x140, v2
	ds_load_2addr_b64 v[4:7], v3 offset1:4
	ds_load_b64 v[8:9], v8
	ds_load_b32 v10, v11
	ds_load_b64 v[12:13], v11
	ds_load_b64 v[14:15], v2 offset:32
	s_wait_dscnt 0x4
	v_pk_mul_f32 v[16:17], v[4:5], v[6:7] op_sel:[1,1] op_sel_hi:[1,0] neg_lo:[0,1]
	s_wait_dscnt 0x0
	v_pk_mul_f32 v[18:19], v[14:15], v[8:9] op_sel:[1,1] op_sel_hi:[1,0] neg_lo:[0,1]
	s_delay_alu instid0(VALU_DEP_2) | instskip(SKIP_1) | instid1(VALU_DEP_3)
	v_pk_fma_f32 v[16:17], v[6:7], v[4:5], v[16:17] op_sel_hi:[1,0,1]
	v_pk_mul_f32 v[28:29], v[14:15], v[12:13] op_sel:[1,1] op_sel_hi:[1,0] neg_lo:[0,1]
	v_pk_fma_f32 v[18:19], v[8:9], v[14:15], v[18:19] op_sel_hi:[1,0,1]
	s_delay_alu instid0(VALU_DEP_1) | instskip(SKIP_4) | instid1(VALU_DEP_1)
	v_pk_add_f32 v[16:17], v[16:17], v[18:19] neg_lo:[0,1] neg_hi:[0,1]
	ds_load_2addr_b32 v[18:19], v11 offset0:1 offset1:8
	ds_load_b32 v20, v11 offset:36
	ds_load_b64 v[22:23], v11 offset:32
	v_mul_f32_e32 v3, v17, v17
	v_fmac_f32_e32 v3, v16, v16
	s_delay_alu instid0(VALU_DEP_1) | instskip(SKIP_2) | instid1(VALU_DEP_2)
	v_div_scale_f32 v26, null, v3, v3, 1.0
	s_wait_dscnt 0x2
	v_pk_mul_f32 v[24:25], v[18:19], v[6:7] op_sel:[0,1] op_sel_hi:[0,0] neg_lo:[0,1]
	v_rcp_f32_e32 v30, v26
	v_mov_b32_e32 v18, v19
	s_delay_alu instid0(TRANS32_DEP_1) | instskip(NEXT) | instid1(VALU_DEP_1)
	v_fma_f32 v21, -v26, v30, 1.0
	v_fmac_f32_e32 v30, v21, v30
	v_div_scale_f32 v27, vcc_lo, 1.0, v3, 1.0
	s_delay_alu instid0(VALU_DEP_1) | instskip(NEXT) | instid1(VALU_DEP_1)
	v_mul_f32_e32 v11, v27, v30
	v_fma_f32 v21, -v26, v11, v27
	s_delay_alu instid0(VALU_DEP_1) | instskip(NEXT) | instid1(VALU_DEP_1)
	v_fmac_f32_e32 v11, v21, v30
	v_fma_f32 v19, -v26, v11, v27
	s_wait_dscnt 0x1
	v_pk_mul_f32 v[20:21], v[20:21], v[8:9] op_sel:[0,1] op_sel_hi:[0,0] neg_lo:[0,1]
	s_wait_dscnt 0x0
	v_pk_mul_f32 v[26:27], v[4:5], v[22:23] op_sel:[1,1] op_sel_hi:[1,0] neg_lo:[0,1]
	v_div_fmas_f32 v11, v19, v30, v11
	s_delay_alu instid0(VALU_DEP_3) | instskip(NEXT) | instid1(VALU_DEP_3)
	v_pk_fma_f32 v[8:9], v[8:9], v[18:19], v[20:21] op_sel_hi:[1,0,1]
	v_pk_fma_f32 v[4:5], v[22:23], v[4:5], v[26:27] op_sel_hi:[1,0,1]
	v_fma_f32 v18, v16, 0, -v17
	s_delay_alu instid0(VALU_DEP_4) | instskip(SKIP_2) | instid1(VALU_DEP_3)
	v_pk_fma_f32 v[6:7], v[6:7], v[10:11], v[24:25] op_sel_hi:[1,0,1]
	v_div_fixup_f32 v3, v11, v3, 1.0
	v_pk_fma_f32 v[10:11], v[12:13], v[14:15], v[28:29] op_sel_hi:[1,0,1]
	v_pk_add_f32 v[6:7], v[6:7], v[8:9] neg_lo:[0,1] neg_hi:[0,1]
	s_delay_alu instid0(VALU_DEP_3) | instskip(NEXT) | instid1(VALU_DEP_3)
	v_dual_fma_f32 v9, 0, v17, v16 :: v_dual_mul_f32 v8, v18, v3
	v_pk_add_f32 v[4:5], v[4:5], v[10:11] neg_lo:[0,1] neg_hi:[0,1]
	s_delay_alu instid0(VALU_DEP_2) | instskip(NEXT) | instid1(VALU_DEP_3)
	v_mul_f32_e32 v10, v9, v3
	v_pk_mul_f32 v[12:13], v[8:9], v[6:7] op_sel:[0,1] op_sel_hi:[0,0] neg_lo:[0,1]
	s_delay_alu instid0(VALU_DEP_3) | instskip(NEXT) | instid1(VALU_DEP_2)
	v_pk_mul_f32 v[8:9], v[8:9], v[4:5] op_sel:[0,1] op_sel_hi:[0,0] neg_lo:[0,1]
	v_pk_fma_f32 v[6:7], v[6:7], v[10:11], v[12:13] op_sel_hi:[1,0,1]
	s_delay_alu instid0(VALU_DEP_2)
	v_pk_fma_f32 v[4:5], v[4:5], v[10:11], v[8:9] op_sel_hi:[1,0,1]
	ds_store_2addr_b64 v2, v[6:7], v[4:5] offset0:30 offset1:34
.LBB44_2:
	s_or_b32 exec_lo, exec_lo, s0
	s_wait_dscnt 0x0
	; wave barrier
	ds_load_b64 v[2:3], v2 offset:240
	s_wait_dscnt 0x0
	global_store_b64 v[0:1], v[2:3], off
	s_endpgm
	.section	.rodata,"a",@progbits
	.p2align	6, 0x0
	.amdhsa_kernel _ZN9rocsparseL49gtsv_nopivot_strided_batch_pcr_pow2_shared_kernelILj8E21rocsparse_complex_numIfEEEviiiPKT0_S5_S5_PS3_
		.amdhsa_group_segment_fixed_size 392
		.amdhsa_private_segment_fixed_size 0
		.amdhsa_kernarg_size 48
		.amdhsa_user_sgpr_count 2
		.amdhsa_user_sgpr_dispatch_ptr 0
		.amdhsa_user_sgpr_queue_ptr 0
		.amdhsa_user_sgpr_kernarg_segment_ptr 1
		.amdhsa_user_sgpr_dispatch_id 0
		.amdhsa_user_sgpr_kernarg_preload_length 0
		.amdhsa_user_sgpr_kernarg_preload_offset 0
		.amdhsa_user_sgpr_private_segment_size 0
		.amdhsa_wavefront_size32 1
		.amdhsa_uses_dynamic_stack 0
		.amdhsa_enable_private_segment 0
		.amdhsa_system_sgpr_workgroup_id_x 1
		.amdhsa_system_sgpr_workgroup_id_y 0
		.amdhsa_system_sgpr_workgroup_id_z 0
		.amdhsa_system_sgpr_workgroup_info 0
		.amdhsa_system_vgpr_workitem_id 0
		.amdhsa_next_free_vgpr 42
		.amdhsa_next_free_sgpr 12
		.amdhsa_named_barrier_count 0
		.amdhsa_reserve_vcc 1
		.amdhsa_float_round_mode_32 0
		.amdhsa_float_round_mode_16_64 0
		.amdhsa_float_denorm_mode_32 3
		.amdhsa_float_denorm_mode_16_64 3
		.amdhsa_fp16_overflow 0
		.amdhsa_memory_ordered 1
		.amdhsa_forward_progress 1
		.amdhsa_inst_pref_size 13
		.amdhsa_round_robin_scheduling 0
		.amdhsa_exception_fp_ieee_invalid_op 0
		.amdhsa_exception_fp_denorm_src 0
		.amdhsa_exception_fp_ieee_div_zero 0
		.amdhsa_exception_fp_ieee_overflow 0
		.amdhsa_exception_fp_ieee_underflow 0
		.amdhsa_exception_fp_ieee_inexact 0
		.amdhsa_exception_int_div_zero 0
	.end_amdhsa_kernel
	.section	.text._ZN9rocsparseL49gtsv_nopivot_strided_batch_pcr_pow2_shared_kernelILj8E21rocsparse_complex_numIfEEEviiiPKT0_S5_S5_PS3_,"axG",@progbits,_ZN9rocsparseL49gtsv_nopivot_strided_batch_pcr_pow2_shared_kernelILj8E21rocsparse_complex_numIfEEEviiiPKT0_S5_S5_PS3_,comdat
.Lfunc_end44:
	.size	_ZN9rocsparseL49gtsv_nopivot_strided_batch_pcr_pow2_shared_kernelILj8E21rocsparse_complex_numIfEEEviiiPKT0_S5_S5_PS3_, .Lfunc_end44-_ZN9rocsparseL49gtsv_nopivot_strided_batch_pcr_pow2_shared_kernelILj8E21rocsparse_complex_numIfEEEviiiPKT0_S5_S5_PS3_
                                        ; -- End function
	.set _ZN9rocsparseL49gtsv_nopivot_strided_batch_pcr_pow2_shared_kernelILj8E21rocsparse_complex_numIfEEEviiiPKT0_S5_S5_PS3_.num_vgpr, 42
	.set _ZN9rocsparseL49gtsv_nopivot_strided_batch_pcr_pow2_shared_kernelILj8E21rocsparse_complex_numIfEEEviiiPKT0_S5_S5_PS3_.num_agpr, 0
	.set _ZN9rocsparseL49gtsv_nopivot_strided_batch_pcr_pow2_shared_kernelILj8E21rocsparse_complex_numIfEEEviiiPKT0_S5_S5_PS3_.numbered_sgpr, 12
	.set _ZN9rocsparseL49gtsv_nopivot_strided_batch_pcr_pow2_shared_kernelILj8E21rocsparse_complex_numIfEEEviiiPKT0_S5_S5_PS3_.num_named_barrier, 0
	.set _ZN9rocsparseL49gtsv_nopivot_strided_batch_pcr_pow2_shared_kernelILj8E21rocsparse_complex_numIfEEEviiiPKT0_S5_S5_PS3_.private_seg_size, 0
	.set _ZN9rocsparseL49gtsv_nopivot_strided_batch_pcr_pow2_shared_kernelILj8E21rocsparse_complex_numIfEEEviiiPKT0_S5_S5_PS3_.uses_vcc, 1
	.set _ZN9rocsparseL49gtsv_nopivot_strided_batch_pcr_pow2_shared_kernelILj8E21rocsparse_complex_numIfEEEviiiPKT0_S5_S5_PS3_.uses_flat_scratch, 0
	.set _ZN9rocsparseL49gtsv_nopivot_strided_batch_pcr_pow2_shared_kernelILj8E21rocsparse_complex_numIfEEEviiiPKT0_S5_S5_PS3_.has_dyn_sized_stack, 0
	.set _ZN9rocsparseL49gtsv_nopivot_strided_batch_pcr_pow2_shared_kernelILj8E21rocsparse_complex_numIfEEEviiiPKT0_S5_S5_PS3_.has_recursion, 0
	.set _ZN9rocsparseL49gtsv_nopivot_strided_batch_pcr_pow2_shared_kernelILj8E21rocsparse_complex_numIfEEEviiiPKT0_S5_S5_PS3_.has_indirect_call, 0
	.section	.AMDGPU.csdata,"",@progbits
; Kernel info:
; codeLenInByte = 1636
; TotalNumSgprs: 14
; NumVgprs: 42
; ScratchSize: 0
; MemoryBound: 0
; FloatMode: 240
; IeeeMode: 1
; LDSByteSize: 392 bytes/workgroup (compile time only)
; SGPRBlocks: 0
; VGPRBlocks: 2
; NumSGPRsForWavesPerEU: 14
; NumVGPRsForWavesPerEU: 42
; NamedBarCnt: 0
; Occupancy: 16
; WaveLimiterHint : 0
; COMPUTE_PGM_RSRC2:SCRATCH_EN: 0
; COMPUTE_PGM_RSRC2:USER_SGPR: 2
; COMPUTE_PGM_RSRC2:TRAP_HANDLER: 0
; COMPUTE_PGM_RSRC2:TGID_X_EN: 1
; COMPUTE_PGM_RSRC2:TGID_Y_EN: 0
; COMPUTE_PGM_RSRC2:TGID_Z_EN: 0
; COMPUTE_PGM_RSRC2:TIDIG_COMP_CNT: 0
	.section	.text._ZN9rocsparseL49gtsv_nopivot_strided_batch_pcr_pow2_shared_kernelILj16E21rocsparse_complex_numIfEEEviiiPKT0_S5_S5_PS3_,"axG",@progbits,_ZN9rocsparseL49gtsv_nopivot_strided_batch_pcr_pow2_shared_kernelILj16E21rocsparse_complex_numIfEEEviiiPKT0_S5_S5_PS3_,comdat
	.globl	_ZN9rocsparseL49gtsv_nopivot_strided_batch_pcr_pow2_shared_kernelILj16E21rocsparse_complex_numIfEEEviiiPKT0_S5_S5_PS3_ ; -- Begin function _ZN9rocsparseL49gtsv_nopivot_strided_batch_pcr_pow2_shared_kernelILj16E21rocsparse_complex_numIfEEEviiiPKT0_S5_S5_PS3_
	.p2align	8
	.type	_ZN9rocsparseL49gtsv_nopivot_strided_batch_pcr_pow2_shared_kernelILj16E21rocsparse_complex_numIfEEEviiiPKT0_S5_S5_PS3_,@function
_ZN9rocsparseL49gtsv_nopivot_strided_batch_pcr_pow2_shared_kernelILj16E21rocsparse_complex_numIfEEEviiiPKT0_S5_S5_PS3_: ; @_ZN9rocsparseL49gtsv_nopivot_strided_batch_pcr_pow2_shared_kernelILj16E21rocsparse_complex_numIfEEEviiiPKT0_S5_S5_PS3_
; %bb.0:
	s_load_b32 s2, s[0:1], 0x8
	s_bfe_u32 s3, ttmp6, 0x4000c
	s_load_b256 s[4:11], s[0:1], 0x10
	s_add_co_i32 s3, s3, 1
	s_wait_xcnt 0x0
	s_and_b32 s0, ttmp6, 15
	s_mul_i32 s1, ttmp9, s3
	s_getreg_b32 s3, hwreg(HW_REG_IB_STS2, 6, 4)
	s_add_co_i32 s0, s0, s1
	s_cmp_eq_u32 s3, 0
	v_sub_nc_u32_e64 v1, v0, 1 clamp
	s_cselect_b32 s0, ttmp9, s0
	v_min_u32_e32 v3, 14, v0
	v_lshlrev_b32_e32 v2, 3, v0
	v_min_u32_e32 v40, 13, v0
	s_delay_alu instid0(VALU_DEP_3)
	v_dual_lshlrev_b32 v1, 3, v1 :: v_dual_lshlrev_b32 v3, 3, v3
	s_wait_kmcnt 0x0
	v_mad_u32 v28, s2, s0, v0
	s_clause 0x3
	global_load_b64 v[4:5], v28, s[4:5] scale_offset
	global_load_b64 v[6:7], v28, s[6:7] scale_offset
	;; [unrolled: 1-line block ×4, first 2 shown]
	s_wait_loadcnt 0x2
	ds_store_2addr_b64 v2, v[4:5], v[6:7] offset1:18
	s_wait_loadcnt 0x0
	ds_store_2addr_b64 v2, v[8:9], v[10:11] offset0:36 offset1:72
	s_wait_dscnt 0x0
	; wave barrier
	ds_load_2addr_b64 v[4:7], v1 offset1:18
	ds_load_2addr_b64 v[8:11], v3 offset0:1 offset1:19
	ds_load_2addr_b64 v[12:15], v2 offset1:18
	ds_load_2addr_b64 v[16:19], v2 offset0:36 offset1:72
	s_wait_dscnt 0x2
	v_mul_f32_e32 v30, v11, v11
	s_delay_alu instid0(VALU_DEP_1) | instskip(NEXT) | instid1(VALU_DEP_1)
	v_dual_mul_f32 v29, v7, v7 :: v_dual_fmac_f32 v30, v10, v10
	v_fmac_f32_e32 v29, v6, v6
	s_delay_alu instid0(VALU_DEP_2) | instskip(NEXT) | instid1(VALU_DEP_2)
	v_div_scale_f32 v32, null, v30, v30, 1.0
	v_div_scale_f32 v31, null, v29, v29, 1.0
	v_div_scale_f32 v35, vcc_lo, 1.0, v29, 1.0
	s_delay_alu instid0(VALU_DEP_3) | instskip(NEXT) | instid1(VALU_DEP_2)
	v_rcp_f32_e32 v34, v32
	v_rcp_f32_e32 v33, v31
	v_div_scale_f32 v36, s0, 1.0, v30, 1.0
	s_delay_alu instid0(TRANS32_DEP_2) | instskip(NEXT) | instid1(TRANS32_DEP_1)
	v_fma_f32 v21, -v32, v34, 1.0
	v_fma_f32 v20, -v31, v33, 1.0
	s_delay_alu instid0(VALU_DEP_1) | instskip(SKIP_4) | instid1(VALU_DEP_1)
	v_dual_fmac_f32 v33, v20, v33 :: v_dual_fmac_f32 v34, v21, v34
	ds_load_2addr_b64 v[20:23], v1 offset0:36 offset1:72
	ds_load_2addr_b64 v[24:27], v3 offset0:37 offset1:73
	s_wait_dscnt 0x0
	; wave barrier
	v_dual_mul_f32 v37, v35, v33 :: v_dual_mul_f32 v38, v36, v34
	v_dual_fma_f32 v39, -v31, v37, v35 :: v_dual_fma_f32 v41, -v32, v38, v36
	s_delay_alu instid0(VALU_DEP_1) | instskip(NEXT) | instid1(VALU_DEP_2)
	v_fmac_f32_e32 v37, v39, v33
	v_dual_mul_f32 v1, v7, v13 :: v_dual_fmac_f32 v38, v41, v34
	v_mul_f32_e64 v3, v7, -v12
	v_dual_mul_f32 v7, v11, v17 :: v_dual_mul_f32 v11, v11, -v16
	s_delay_alu instid0(VALU_DEP_3) | instskip(NEXT) | instid1(VALU_DEP_4)
	v_dual_fma_f32 v31, -v31, v37, v35 :: v_dual_fmac_f32 v1, v12, v6
	v_fma_f32 v32, -v32, v38, v36
	s_delay_alu instid0(VALU_DEP_4) | instskip(NEXT) | instid1(VALU_DEP_3)
	v_fmac_f32_e32 v3, v13, v6
	v_div_fmas_f32 v31, v31, v33, v37
	s_mov_b32 vcc_lo, s0
	s_delay_alu instid0(VALU_DEP_3) | instskip(NEXT) | instid1(VALU_DEP_2)
	v_div_fmas_f32 v32, v32, v34, v38
	v_div_fixup_f32 v13, v31, v29, 1.0
	v_fmac_f32_e32 v11, v17, v10
	s_delay_alu instid0(VALU_DEP_3) | instskip(NEXT) | instid1(VALU_DEP_3)
	v_div_fixup_f32 v17, v32, v30, 1.0
	v_dual_fmac_f32 v7, v16, v10 :: v_dual_mul_f32 v10, v13, v1
	v_mul_f32_e32 v6, v3, v13
	v_sub_nc_u32_e64 v3, v0, 2 clamp
	s_delay_alu instid0(VALU_DEP_3) | instskip(NEXT) | instid1(VALU_DEP_3)
	v_dual_mul_f32 v12, v11, v17 :: v_dual_mul_f32 v16, v17, v7
	v_pk_mul_f32 v[30:31], v[6:7], v[20:21] op_sel:[0,1] op_sel_hi:[0,0] neg_lo:[0,1]
	v_pk_mul_f32 v[32:33], v[6:7], v[22:23] op_sel:[0,1] op_sel_hi:[0,0] neg_lo:[0,1]
	s_delay_alu instid0(VALU_DEP_3)
	v_pk_mul_f32 v[34:35], v[12:13], v[8:9] op_sel:[0,1] op_sel_hi:[0,0] neg_lo:[0,1]
	v_pk_mul_f32 v[36:37], v[12:13], v[26:27] op_sel:[0,1] op_sel_hi:[0,0] neg_lo:[0,1]
	v_pk_mul_f32 v[6:7], v[6:7], v[4:5] op_sel:[0,1] op_sel_hi:[0,0] neg_hi:[0,1]
	v_pk_fma_f32 v[20:21], v[20:21], v[10:11], v[30:31] op_sel_hi:[1,0,1]
	v_pk_fma_f32 v[22:23], v[22:23], v[10:11], v[32:33] op_sel_hi:[1,0,1]
	v_dual_lshlrev_b32 v1, 3, v3 :: v_dual_lshlrev_b32 v3, 3, v40
	v_pk_fma_f32 v[8:9], v[8:9], v[16:17], v[34:35] op_sel_hi:[1,0,1]
	s_delay_alu instid0(VALU_DEP_4)
	v_pk_add_f32 v[14:15], v[14:15], v[20:21] neg_lo:[0,1] neg_hi:[0,1]
	v_pk_mul_f32 v[12:13], v[12:13], v[24:25] op_sel:[0,1] op_sel_hi:[0,0] neg_hi:[0,1]
	v_pk_fma_f32 v[26:27], v[26:27], v[16:17], v[36:37] op_sel_hi:[1,0,1]
	v_pk_add_f32 v[18:19], v[18:19], v[22:23] neg_lo:[0,1] neg_hi:[0,1]
	v_pk_fma_f32 v[4:5], v[4:5], v[10:11], v[6:7] op_sel_hi:[1,0,1] neg_lo:[1,0,0] neg_hi:[1,0,0]
	v_pk_add_f32 v[8:9], v[14:15], v[8:9] neg_lo:[0,1] neg_hi:[0,1]
	v_pk_fma_f32 v[6:7], v[24:25], v[16:17], v[12:13] op_sel_hi:[1,0,1] neg_lo:[1,0,0] neg_hi:[1,0,0]
	v_min_u32_e32 v40, 11, v0
	v_pk_add_f32 v[10:11], v[18:19], v[26:27] neg_lo:[0,1] neg_hi:[0,1]
	ds_store_2addr_b64 v2, v[4:5], v[8:9] offset1:18
	ds_store_2addr_b64 v2, v[6:7], v[10:11] offset0:36 offset1:72
	s_wait_dscnt 0x0
	; wave barrier
	ds_load_2addr_b64 v[4:7], v1 offset1:18
	ds_load_2addr_b64 v[8:11], v3 offset0:2 offset1:20
	ds_load_2addr_b64 v[12:15], v2 offset1:18
	ds_load_2addr_b64 v[16:19], v2 offset0:36 offset1:72
	s_wait_dscnt 0x2
	v_mul_f32_e32 v30, v11, v11
	s_delay_alu instid0(VALU_DEP_1) | instskip(NEXT) | instid1(VALU_DEP_1)
	v_dual_mul_f32 v29, v7, v7 :: v_dual_fmac_f32 v30, v10, v10
	v_fmac_f32_e32 v29, v6, v6
	s_delay_alu instid0(VALU_DEP_2) | instskip(NEXT) | instid1(VALU_DEP_2)
	v_div_scale_f32 v32, null, v30, v30, 1.0
	v_div_scale_f32 v31, null, v29, v29, 1.0
	v_div_scale_f32 v35, vcc_lo, 1.0, v29, 1.0
	s_delay_alu instid0(VALU_DEP_3) | instskip(NEXT) | instid1(VALU_DEP_2)
	v_rcp_f32_e32 v34, v32
	v_rcp_f32_e32 v33, v31
	v_div_scale_f32 v36, s0, 1.0, v30, 1.0
	s_delay_alu instid0(TRANS32_DEP_2) | instskip(NEXT) | instid1(TRANS32_DEP_1)
	v_fma_f32 v21, -v32, v34, 1.0
	v_fma_f32 v20, -v31, v33, 1.0
	s_delay_alu instid0(VALU_DEP_1) | instskip(SKIP_4) | instid1(VALU_DEP_1)
	v_dual_fmac_f32 v33, v20, v33 :: v_dual_fmac_f32 v34, v21, v34
	ds_load_2addr_b64 v[20:23], v1 offset0:36 offset1:72
	ds_load_2addr_b64 v[24:27], v3 offset0:38 offset1:74
	s_wait_dscnt 0x0
	; wave barrier
	v_dual_mul_f32 v37, v35, v33 :: v_dual_mul_f32 v38, v36, v34
	v_dual_fma_f32 v39, -v31, v37, v35 :: v_dual_fma_f32 v41, -v32, v38, v36
	s_delay_alu instid0(VALU_DEP_1) | instskip(NEXT) | instid1(VALU_DEP_2)
	v_fmac_f32_e32 v37, v39, v33
	v_dual_mul_f32 v1, v7, v13 :: v_dual_fmac_f32 v38, v41, v34
	v_mul_f32_e64 v3, v7, -v12
	v_dual_mul_f32 v7, v11, v17 :: v_dual_mul_f32 v11, v11, -v16
	s_delay_alu instid0(VALU_DEP_3) | instskip(NEXT) | instid1(VALU_DEP_4)
	v_dual_fma_f32 v31, -v31, v37, v35 :: v_dual_fmac_f32 v1, v12, v6
	v_fma_f32 v32, -v32, v38, v36
	s_delay_alu instid0(VALU_DEP_4) | instskip(NEXT) | instid1(VALU_DEP_3)
	v_fmac_f32_e32 v3, v13, v6
	v_div_fmas_f32 v31, v31, v33, v37
	s_mov_b32 vcc_lo, s0
	s_delay_alu instid0(VALU_DEP_3) | instskip(NEXT) | instid1(VALU_DEP_2)
	v_div_fmas_f32 v32, v32, v34, v38
	v_div_fixup_f32 v13, v31, v29, 1.0
	v_fmac_f32_e32 v11, v17, v10
	s_delay_alu instid0(VALU_DEP_3) | instskip(NEXT) | instid1(VALU_DEP_3)
	v_div_fixup_f32 v17, v32, v30, 1.0
	v_dual_fmac_f32 v7, v16, v10 :: v_dual_mul_f32 v10, v13, v1
	v_mul_f32_e32 v6, v3, v13
	v_sub_nc_u32_e64 v3, v0, 4 clamp
	s_delay_alu instid0(VALU_DEP_3) | instskip(NEXT) | instid1(VALU_DEP_3)
	v_dual_mul_f32 v12, v11, v17 :: v_dual_mul_f32 v16, v17, v7
	v_pk_mul_f32 v[30:31], v[6:7], v[20:21] op_sel:[0,1] op_sel_hi:[0,0] neg_lo:[0,1]
	v_pk_mul_f32 v[32:33], v[6:7], v[22:23] op_sel:[0,1] op_sel_hi:[0,0] neg_lo:[0,1]
	s_delay_alu instid0(VALU_DEP_3)
	v_pk_mul_f32 v[34:35], v[12:13], v[8:9] op_sel:[0,1] op_sel_hi:[0,0] neg_lo:[0,1]
	v_pk_mul_f32 v[36:37], v[12:13], v[26:27] op_sel:[0,1] op_sel_hi:[0,0] neg_lo:[0,1]
	v_pk_mul_f32 v[6:7], v[6:7], v[4:5] op_sel:[0,1] op_sel_hi:[0,0] neg_hi:[0,1]
	v_pk_fma_f32 v[20:21], v[20:21], v[10:11], v[30:31] op_sel_hi:[1,0,1]
	v_pk_fma_f32 v[22:23], v[22:23], v[10:11], v[32:33] op_sel_hi:[1,0,1]
	v_dual_lshlrev_b32 v1, 3, v3 :: v_dual_lshlrev_b32 v3, 3, v40
	v_pk_fma_f32 v[8:9], v[8:9], v[16:17], v[34:35] op_sel_hi:[1,0,1]
	s_delay_alu instid0(VALU_DEP_4)
	v_pk_add_f32 v[14:15], v[14:15], v[20:21] neg_lo:[0,1] neg_hi:[0,1]
	v_pk_mul_f32 v[12:13], v[12:13], v[24:25] op_sel:[0,1] op_sel_hi:[0,0] neg_hi:[0,1]
	v_pk_fma_f32 v[26:27], v[26:27], v[16:17], v[36:37] op_sel_hi:[1,0,1]
	v_pk_add_f32 v[18:19], v[18:19], v[22:23] neg_lo:[0,1] neg_hi:[0,1]
	v_pk_fma_f32 v[4:5], v[4:5], v[10:11], v[6:7] op_sel_hi:[1,0,1] neg_lo:[1,0,0] neg_hi:[1,0,0]
	v_pk_add_f32 v[8:9], v[14:15], v[8:9] neg_lo:[0,1] neg_hi:[0,1]
	v_pk_fma_f32 v[6:7], v[24:25], v[16:17], v[12:13] op_sel_hi:[1,0,1] neg_lo:[1,0,0] neg_hi:[1,0,0]
	s_delay_alu instid0(VALU_DEP_4)
	v_pk_add_f32 v[10:11], v[18:19], v[26:27] neg_lo:[0,1] neg_hi:[0,1]
	ds_store_2addr_b64 v2, v[4:5], v[8:9] offset1:18
	ds_store_2addr_b64 v2, v[6:7], v[10:11] offset0:36 offset1:72
	s_wait_dscnt 0x0
	; wave barrier
	ds_load_2addr_b64 v[4:7], v1 offset1:18
	ds_load_2addr_b64 v[8:11], v3 offset0:4 offset1:22
	ds_load_2addr_b64 v[12:15], v2 offset1:18
	ds_load_2addr_b64 v[16:19], v2 offset0:36 offset1:72
	s_wait_dscnt 0x2
	v_mul_f32_e32 v30, v11, v11
	s_delay_alu instid0(VALU_DEP_1) | instskip(NEXT) | instid1(VALU_DEP_1)
	v_dual_mul_f32 v29, v7, v7 :: v_dual_fmac_f32 v30, v10, v10
	v_fmac_f32_e32 v29, v6, v6
	s_delay_alu instid0(VALU_DEP_2) | instskip(NEXT) | instid1(VALU_DEP_2)
	v_div_scale_f32 v32, null, v30, v30, 1.0
	v_div_scale_f32 v31, null, v29, v29, 1.0
	v_div_scale_f32 v35, vcc_lo, 1.0, v29, 1.0
	s_delay_alu instid0(VALU_DEP_3) | instskip(NEXT) | instid1(VALU_DEP_2)
	v_rcp_f32_e32 v34, v32
	v_rcp_f32_e32 v33, v31
	v_div_scale_f32 v36, s0, 1.0, v30, 1.0
	s_delay_alu instid0(TRANS32_DEP_2) | instskip(NEXT) | instid1(TRANS32_DEP_1)
	v_fma_f32 v21, -v32, v34, 1.0
	v_fma_f32 v20, -v31, v33, 1.0
	s_delay_alu instid0(VALU_DEP_1) | instskip(SKIP_4) | instid1(VALU_DEP_1)
	v_dual_fmac_f32 v33, v20, v33 :: v_dual_fmac_f32 v34, v21, v34
	ds_load_2addr_b64 v[20:23], v1 offset0:36 offset1:72
	ds_load_2addr_b64 v[24:27], v3 offset0:40 offset1:76
	s_wait_dscnt 0x0
	; wave barrier
	v_dual_mul_f32 v37, v35, v33 :: v_dual_mul_f32 v38, v36, v34
	v_dual_fma_f32 v39, -v31, v37, v35 :: v_dual_fma_f32 v40, -v32, v38, v36
	s_delay_alu instid0(VALU_DEP_1) | instskip(NEXT) | instid1(VALU_DEP_2)
	v_fmac_f32_e32 v37, v39, v33
	v_dual_mul_f32 v1, v7, v13 :: v_dual_fmac_f32 v38, v40, v34
	v_mul_f32_e64 v3, v7, -v12
	v_dual_mul_f32 v7, v11, v17 :: v_dual_mul_f32 v11, v11, -v16
	s_delay_alu instid0(VALU_DEP_3) | instskip(NEXT) | instid1(VALU_DEP_4)
	v_dual_fma_f32 v31, -v31, v37, v35 :: v_dual_fmac_f32 v1, v12, v6
	v_fma_f32 v32, -v32, v38, v36
	s_delay_alu instid0(VALU_DEP_4) | instskip(NEXT) | instid1(VALU_DEP_3)
	v_fmac_f32_e32 v3, v13, v6
	v_div_fmas_f32 v31, v31, v33, v37
	s_mov_b32 vcc_lo, s0
	s_delay_alu instid0(VALU_DEP_3) | instskip(SKIP_1) | instid1(VALU_DEP_3)
	v_div_fmas_f32 v32, v32, v34, v38
	v_cmp_gt_u32_e32 vcc_lo, 8, v0
	v_div_fixup_f32 v13, v31, v29, 1.0
	v_ashrrev_i32_e32 v29, 31, v28
	s_delay_alu instid0(VALU_DEP_4) | instskip(NEXT) | instid1(VALU_DEP_3)
	v_div_fixup_f32 v12, v32, v30, 1.0
	v_mul_f32_e32 v0, v13, v1
	v_dual_fmac_f32 v11, v17, v10 :: v_dual_mul_f32 v6, v3, v13
	s_delay_alu instid0(VALU_DEP_1) | instskip(NEXT) | instid1(VALU_DEP_1)
	v_dual_fmac_f32 v7, v16, v10 :: v_dual_mul_f32 v10, v11, v12
	v_pk_mul_f32 v[16:17], v[6:7], v[20:21] op_sel:[0,1] op_sel_hi:[0,0] neg_lo:[0,1]
	v_pk_mul_f32 v[30:31], v[6:7], v[22:23] op_sel:[0,1] op_sel_hi:[0,0] neg_lo:[0,1]
	v_mul_f32_e32 v12, v12, v7
	s_delay_alu instid0(VALU_DEP_4)
	v_pk_mul_f32 v[32:33], v[10:11], v[8:9] op_sel:[0,1] op_sel_hi:[0,0] neg_lo:[0,1]
	v_pk_mul_f32 v[34:35], v[10:11], v[26:27] op_sel:[0,1] op_sel_hi:[0,0] neg_lo:[0,1]
	v_pk_fma_f32 v[16:17], v[20:21], v[0:1], v[16:17] op_sel_hi:[1,0,1]
	v_pk_fma_f32 v[20:21], v[22:23], v[0:1], v[30:31] op_sel_hi:[1,0,1]
	v_pk_mul_f32 v[6:7], v[6:7], v[4:5] op_sel:[0,1] op_sel_hi:[0,0] neg_hi:[0,1]
	v_pk_fma_f32 v[8:9], v[8:9], v[12:13], v[32:33] op_sel_hi:[1,0,1]
	v_pk_mul_f32 v[10:11], v[10:11], v[24:25] op_sel:[0,1] op_sel_hi:[0,0] neg_hi:[0,1]
	v_pk_add_f32 v[14:15], v[14:15], v[16:17] neg_lo:[0,1] neg_hi:[0,1]
	v_pk_fma_f32 v[22:23], v[26:27], v[12:13], v[34:35] op_sel_hi:[1,0,1]
	v_pk_add_f32 v[16:17], v[18:19], v[20:21] neg_lo:[0,1] neg_hi:[0,1]
	v_pk_fma_f32 v[4:5], v[4:5], v[0:1], v[6:7] op_sel_hi:[1,0,1] neg_lo:[1,0,0] neg_hi:[1,0,0]
	v_lshl_add_u64 v[0:1], v[28:29], 3, s[10:11]
	v_pk_add_f32 v[8:9], v[14:15], v[8:9] neg_lo:[0,1] neg_hi:[0,1]
	v_pk_fma_f32 v[6:7], v[24:25], v[12:13], v[10:11] op_sel_hi:[1,0,1] neg_lo:[1,0,0] neg_hi:[1,0,0]
	v_pk_add_f32 v[10:11], v[16:17], v[22:23] neg_lo:[0,1] neg_hi:[0,1]
	ds_store_2addr_b64 v2, v[4:5], v[8:9] offset1:18
	ds_store_2addr_b64 v2, v[6:7], v[10:11] offset0:36 offset1:72
	s_wait_dscnt 0x0
	; wave barrier
	s_and_saveexec_b32 s0, vcc_lo
	s_cbranch_execz .LBB45_2
; %bb.1:
	v_add_nc_u32_e32 v3, 0x90, v2
	v_add_nc_u32_e32 v8, 0x120, v2
	;; [unrolled: 1-line block ×3, first 2 shown]
	ds_load_2addr_b64 v[4:7], v3 offset1:8
	ds_load_b64 v[8:9], v8
	ds_load_b32 v10, v11
	ds_load_b64 v[12:13], v11
	ds_load_b64 v[14:15], v2 offset:64
	s_wait_dscnt 0x4
	v_pk_mul_f32 v[16:17], v[4:5], v[6:7] op_sel:[1,1] op_sel_hi:[1,0] neg_lo:[0,1]
	s_wait_dscnt 0x0
	v_pk_mul_f32 v[18:19], v[14:15], v[8:9] op_sel:[1,1] op_sel_hi:[1,0] neg_lo:[0,1]
	s_delay_alu instid0(VALU_DEP_2) | instskip(SKIP_1) | instid1(VALU_DEP_3)
	v_pk_fma_f32 v[16:17], v[6:7], v[4:5], v[16:17] op_sel_hi:[1,0,1]
	v_pk_mul_f32 v[28:29], v[14:15], v[12:13] op_sel:[1,1] op_sel_hi:[1,0] neg_lo:[0,1]
	v_pk_fma_f32 v[18:19], v[8:9], v[14:15], v[18:19] op_sel_hi:[1,0,1]
	s_delay_alu instid0(VALU_DEP_1) | instskip(SKIP_4) | instid1(VALU_DEP_1)
	v_pk_add_f32 v[16:17], v[16:17], v[18:19] neg_lo:[0,1] neg_hi:[0,1]
	ds_load_2addr_b32 v[18:19], v11 offset0:1 offset1:16
	ds_load_b32 v20, v11 offset:68
	ds_load_b64 v[22:23], v11 offset:64
	v_mul_f32_e32 v3, v17, v17
	v_fmac_f32_e32 v3, v16, v16
	s_delay_alu instid0(VALU_DEP_1) | instskip(SKIP_2) | instid1(VALU_DEP_2)
	v_div_scale_f32 v26, null, v3, v3, 1.0
	s_wait_dscnt 0x2
	v_pk_mul_f32 v[24:25], v[18:19], v[6:7] op_sel:[0,1] op_sel_hi:[0,0] neg_lo:[0,1]
	v_rcp_f32_e32 v30, v26
	v_mov_b32_e32 v18, v19
	s_delay_alu instid0(TRANS32_DEP_1) | instskip(NEXT) | instid1(VALU_DEP_1)
	v_fma_f32 v21, -v26, v30, 1.0
	v_fmac_f32_e32 v30, v21, v30
	v_div_scale_f32 v27, vcc_lo, 1.0, v3, 1.0
	s_delay_alu instid0(VALU_DEP_1) | instskip(NEXT) | instid1(VALU_DEP_1)
	v_mul_f32_e32 v11, v27, v30
	v_fma_f32 v21, -v26, v11, v27
	s_delay_alu instid0(VALU_DEP_1) | instskip(NEXT) | instid1(VALU_DEP_1)
	v_fmac_f32_e32 v11, v21, v30
	v_fma_f32 v19, -v26, v11, v27
	s_wait_dscnt 0x1
	v_pk_mul_f32 v[20:21], v[20:21], v[8:9] op_sel:[0,1] op_sel_hi:[0,0] neg_lo:[0,1]
	s_wait_dscnt 0x0
	v_pk_mul_f32 v[26:27], v[4:5], v[22:23] op_sel:[1,1] op_sel_hi:[1,0] neg_lo:[0,1]
	v_div_fmas_f32 v11, v19, v30, v11
	s_delay_alu instid0(VALU_DEP_3) | instskip(NEXT) | instid1(VALU_DEP_3)
	v_pk_fma_f32 v[8:9], v[8:9], v[18:19], v[20:21] op_sel_hi:[1,0,1]
	v_pk_fma_f32 v[4:5], v[22:23], v[4:5], v[26:27] op_sel_hi:[1,0,1]
	v_fma_f32 v18, v16, 0, -v17
	s_delay_alu instid0(VALU_DEP_4) | instskip(SKIP_2) | instid1(VALU_DEP_3)
	v_pk_fma_f32 v[6:7], v[6:7], v[10:11], v[24:25] op_sel_hi:[1,0,1]
	v_div_fixup_f32 v3, v11, v3, 1.0
	v_pk_fma_f32 v[10:11], v[12:13], v[14:15], v[28:29] op_sel_hi:[1,0,1]
	v_pk_add_f32 v[6:7], v[6:7], v[8:9] neg_lo:[0,1] neg_hi:[0,1]
	s_delay_alu instid0(VALU_DEP_3) | instskip(NEXT) | instid1(VALU_DEP_3)
	v_dual_fma_f32 v9, 0, v17, v16 :: v_dual_mul_f32 v8, v18, v3
	v_pk_add_f32 v[4:5], v[4:5], v[10:11] neg_lo:[0,1] neg_hi:[0,1]
	s_delay_alu instid0(VALU_DEP_2) | instskip(NEXT) | instid1(VALU_DEP_3)
	v_mul_f32_e32 v10, v9, v3
	v_pk_mul_f32 v[12:13], v[8:9], v[6:7] op_sel:[0,1] op_sel_hi:[0,0] neg_lo:[0,1]
	s_delay_alu instid0(VALU_DEP_3) | instskip(NEXT) | instid1(VALU_DEP_2)
	v_pk_mul_f32 v[8:9], v[8:9], v[4:5] op_sel:[0,1] op_sel_hi:[0,0] neg_lo:[0,1]
	v_pk_fma_f32 v[6:7], v[6:7], v[10:11], v[12:13] op_sel_hi:[1,0,1]
	s_delay_alu instid0(VALU_DEP_2)
	v_pk_fma_f32 v[4:5], v[4:5], v[10:11], v[8:9] op_sel_hi:[1,0,1]
	ds_store_2addr_b64 v2, v[6:7], v[4:5] offset0:54 offset1:62
.LBB45_2:
	s_or_b32 exec_lo, exec_lo, s0
	s_wait_dscnt 0x0
	; wave barrier
	ds_load_b64 v[2:3], v2 offset:432
	s_wait_dscnt 0x0
	global_store_b64 v[0:1], v[2:3], off
	s_endpgm
	.section	.rodata,"a",@progbits
	.p2align	6, 0x0
	.amdhsa_kernel _ZN9rocsparseL49gtsv_nopivot_strided_batch_pcr_pow2_shared_kernelILj16E21rocsparse_complex_numIfEEEviiiPKT0_S5_S5_PS3_
		.amdhsa_group_segment_fixed_size 712
		.amdhsa_private_segment_fixed_size 0
		.amdhsa_kernarg_size 48
		.amdhsa_user_sgpr_count 2
		.amdhsa_user_sgpr_dispatch_ptr 0
		.amdhsa_user_sgpr_queue_ptr 0
		.amdhsa_user_sgpr_kernarg_segment_ptr 1
		.amdhsa_user_sgpr_dispatch_id 0
		.amdhsa_user_sgpr_kernarg_preload_length 0
		.amdhsa_user_sgpr_kernarg_preload_offset 0
		.amdhsa_user_sgpr_private_segment_size 0
		.amdhsa_wavefront_size32 1
		.amdhsa_uses_dynamic_stack 0
		.amdhsa_enable_private_segment 0
		.amdhsa_system_sgpr_workgroup_id_x 1
		.amdhsa_system_sgpr_workgroup_id_y 0
		.amdhsa_system_sgpr_workgroup_id_z 0
		.amdhsa_system_sgpr_workgroup_info 0
		.amdhsa_system_vgpr_workitem_id 0
		.amdhsa_next_free_vgpr 42
		.amdhsa_next_free_sgpr 12
		.amdhsa_named_barrier_count 0
		.amdhsa_reserve_vcc 1
		.amdhsa_float_round_mode_32 0
		.amdhsa_float_round_mode_16_64 0
		.amdhsa_float_denorm_mode_32 3
		.amdhsa_float_denorm_mode_16_64 3
		.amdhsa_fp16_overflow 0
		.amdhsa_memory_ordered 1
		.amdhsa_forward_progress 1
		.amdhsa_inst_pref_size 17
		.amdhsa_round_robin_scheduling 0
		.amdhsa_exception_fp_ieee_invalid_op 0
		.amdhsa_exception_fp_denorm_src 0
		.amdhsa_exception_fp_ieee_div_zero 0
		.amdhsa_exception_fp_ieee_overflow 0
		.amdhsa_exception_fp_ieee_underflow 0
		.amdhsa_exception_fp_ieee_inexact 0
		.amdhsa_exception_int_div_zero 0
	.end_amdhsa_kernel
	.section	.text._ZN9rocsparseL49gtsv_nopivot_strided_batch_pcr_pow2_shared_kernelILj16E21rocsparse_complex_numIfEEEviiiPKT0_S5_S5_PS3_,"axG",@progbits,_ZN9rocsparseL49gtsv_nopivot_strided_batch_pcr_pow2_shared_kernelILj16E21rocsparse_complex_numIfEEEviiiPKT0_S5_S5_PS3_,comdat
.Lfunc_end45:
	.size	_ZN9rocsparseL49gtsv_nopivot_strided_batch_pcr_pow2_shared_kernelILj16E21rocsparse_complex_numIfEEEviiiPKT0_S5_S5_PS3_, .Lfunc_end45-_ZN9rocsparseL49gtsv_nopivot_strided_batch_pcr_pow2_shared_kernelILj16E21rocsparse_complex_numIfEEEviiiPKT0_S5_S5_PS3_
                                        ; -- End function
	.set _ZN9rocsparseL49gtsv_nopivot_strided_batch_pcr_pow2_shared_kernelILj16E21rocsparse_complex_numIfEEEviiiPKT0_S5_S5_PS3_.num_vgpr, 42
	.set _ZN9rocsparseL49gtsv_nopivot_strided_batch_pcr_pow2_shared_kernelILj16E21rocsparse_complex_numIfEEEviiiPKT0_S5_S5_PS3_.num_agpr, 0
	.set _ZN9rocsparseL49gtsv_nopivot_strided_batch_pcr_pow2_shared_kernelILj16E21rocsparse_complex_numIfEEEviiiPKT0_S5_S5_PS3_.numbered_sgpr, 12
	.set _ZN9rocsparseL49gtsv_nopivot_strided_batch_pcr_pow2_shared_kernelILj16E21rocsparse_complex_numIfEEEviiiPKT0_S5_S5_PS3_.num_named_barrier, 0
	.set _ZN9rocsparseL49gtsv_nopivot_strided_batch_pcr_pow2_shared_kernelILj16E21rocsparse_complex_numIfEEEviiiPKT0_S5_S5_PS3_.private_seg_size, 0
	.set _ZN9rocsparseL49gtsv_nopivot_strided_batch_pcr_pow2_shared_kernelILj16E21rocsparse_complex_numIfEEEviiiPKT0_S5_S5_PS3_.uses_vcc, 1
	.set _ZN9rocsparseL49gtsv_nopivot_strided_batch_pcr_pow2_shared_kernelILj16E21rocsparse_complex_numIfEEEviiiPKT0_S5_S5_PS3_.uses_flat_scratch, 0
	.set _ZN9rocsparseL49gtsv_nopivot_strided_batch_pcr_pow2_shared_kernelILj16E21rocsparse_complex_numIfEEEviiiPKT0_S5_S5_PS3_.has_dyn_sized_stack, 0
	.set _ZN9rocsparseL49gtsv_nopivot_strided_batch_pcr_pow2_shared_kernelILj16E21rocsparse_complex_numIfEEEviiiPKT0_S5_S5_PS3_.has_recursion, 0
	.set _ZN9rocsparseL49gtsv_nopivot_strided_batch_pcr_pow2_shared_kernelILj16E21rocsparse_complex_numIfEEEviiiPKT0_S5_S5_PS3_.has_indirect_call, 0
	.section	.AMDGPU.csdata,"",@progbits
; Kernel info:
; codeLenInByte = 2136
; TotalNumSgprs: 14
; NumVgprs: 42
; ScratchSize: 0
; MemoryBound: 0
; FloatMode: 240
; IeeeMode: 1
; LDSByteSize: 712 bytes/workgroup (compile time only)
; SGPRBlocks: 0
; VGPRBlocks: 2
; NumSGPRsForWavesPerEU: 14
; NumVGPRsForWavesPerEU: 42
; NamedBarCnt: 0
; Occupancy: 16
; WaveLimiterHint : 0
; COMPUTE_PGM_RSRC2:SCRATCH_EN: 0
; COMPUTE_PGM_RSRC2:USER_SGPR: 2
; COMPUTE_PGM_RSRC2:TRAP_HANDLER: 0
; COMPUTE_PGM_RSRC2:TGID_X_EN: 1
; COMPUTE_PGM_RSRC2:TGID_Y_EN: 0
; COMPUTE_PGM_RSRC2:TGID_Z_EN: 0
; COMPUTE_PGM_RSRC2:TIDIG_COMP_CNT: 0
	.section	.text._ZN9rocsparseL49gtsv_nopivot_strided_batch_pcr_pow2_shared_kernelILj32E21rocsparse_complex_numIfEEEviiiPKT0_S5_S5_PS3_,"axG",@progbits,_ZN9rocsparseL49gtsv_nopivot_strided_batch_pcr_pow2_shared_kernelILj32E21rocsparse_complex_numIfEEEviiiPKT0_S5_S5_PS3_,comdat
	.globl	_ZN9rocsparseL49gtsv_nopivot_strided_batch_pcr_pow2_shared_kernelILj32E21rocsparse_complex_numIfEEEviiiPKT0_S5_S5_PS3_ ; -- Begin function _ZN9rocsparseL49gtsv_nopivot_strided_batch_pcr_pow2_shared_kernelILj32E21rocsparse_complex_numIfEEEviiiPKT0_S5_S5_PS3_
	.p2align	8
	.type	_ZN9rocsparseL49gtsv_nopivot_strided_batch_pcr_pow2_shared_kernelILj32E21rocsparse_complex_numIfEEEviiiPKT0_S5_S5_PS3_,@function
_ZN9rocsparseL49gtsv_nopivot_strided_batch_pcr_pow2_shared_kernelILj32E21rocsparse_complex_numIfEEEviiiPKT0_S5_S5_PS3_: ; @_ZN9rocsparseL49gtsv_nopivot_strided_batch_pcr_pow2_shared_kernelILj32E21rocsparse_complex_numIfEEEviiiPKT0_S5_S5_PS3_
; %bb.0:
	s_load_b32 s2, s[0:1], 0x8
	s_bfe_u32 s3, ttmp6, 0x4000c
	s_load_b256 s[4:11], s[0:1], 0x10
	s_add_co_i32 s3, s3, 1
	s_wait_xcnt 0x0
	s_and_b32 s0, ttmp6, 15
	s_mul_i32 s1, ttmp9, s3
	s_getreg_b32 s3, hwreg(HW_REG_IB_STS2, 6, 4)
	s_add_co_i32 s0, s0, s1
	s_cmp_eq_u32 s3, 0
	v_sub_nc_u32_e64 v1, v0, 1 clamp
	s_cselect_b32 s0, ttmp9, s0
	v_min_u32_e32 v3, 30, v0
	v_lshlrev_b32_e32 v2, 3, v0
	v_min_u32_e32 v40, 29, v0
	s_delay_alu instid0(VALU_DEP_3)
	v_dual_lshlrev_b32 v1, 3, v1 :: v_dual_lshlrev_b32 v3, 3, v3
	s_wait_kmcnt 0x0
	v_mad_u32 v28, s2, s0, v0
	s_clause 0x3
	global_load_b64 v[4:5], v28, s[4:5] scale_offset
	global_load_b64 v[6:7], v28, s[6:7] scale_offset
	;; [unrolled: 1-line block ×4, first 2 shown]
	s_wait_loadcnt 0x2
	ds_store_2addr_b64 v2, v[4:5], v[6:7] offset1:34
	s_wait_loadcnt 0x0
	ds_store_2addr_b64 v2, v[8:9], v[10:11] offset0:68 offset1:136
	s_wait_dscnt 0x0
	; wave barrier
	ds_load_2addr_b64 v[4:7], v1 offset1:34
	ds_load_2addr_b64 v[8:11], v3 offset0:1 offset1:35
	ds_load_2addr_b64 v[12:15], v2 offset1:34
	ds_load_2addr_b64 v[16:19], v2 offset0:68 offset1:136
	s_wait_dscnt 0x2
	v_mul_f32_e32 v30, v11, v11
	s_delay_alu instid0(VALU_DEP_1) | instskip(NEXT) | instid1(VALU_DEP_1)
	v_dual_mul_f32 v29, v7, v7 :: v_dual_fmac_f32 v30, v10, v10
	v_fmac_f32_e32 v29, v6, v6
	s_delay_alu instid0(VALU_DEP_2) | instskip(NEXT) | instid1(VALU_DEP_2)
	v_div_scale_f32 v32, null, v30, v30, 1.0
	v_div_scale_f32 v31, null, v29, v29, 1.0
	v_div_scale_f32 v35, vcc_lo, 1.0, v29, 1.0
	s_delay_alu instid0(VALU_DEP_3) | instskip(NEXT) | instid1(VALU_DEP_2)
	v_rcp_f32_e32 v34, v32
	v_rcp_f32_e32 v33, v31
	v_div_scale_f32 v36, s0, 1.0, v30, 1.0
	s_delay_alu instid0(TRANS32_DEP_2) | instskip(NEXT) | instid1(TRANS32_DEP_1)
	v_fma_f32 v21, -v32, v34, 1.0
	v_fma_f32 v20, -v31, v33, 1.0
	s_delay_alu instid0(VALU_DEP_1) | instskip(SKIP_4) | instid1(VALU_DEP_1)
	v_dual_fmac_f32 v33, v20, v33 :: v_dual_fmac_f32 v34, v21, v34
	ds_load_2addr_b64 v[20:23], v1 offset0:68 offset1:136
	ds_load_2addr_b64 v[24:27], v3 offset0:69 offset1:137
	s_wait_dscnt 0x0
	; wave barrier
	v_dual_mul_f32 v37, v35, v33 :: v_dual_mul_f32 v38, v36, v34
	v_dual_fma_f32 v39, -v31, v37, v35 :: v_dual_fma_f32 v41, -v32, v38, v36
	s_delay_alu instid0(VALU_DEP_1) | instskip(NEXT) | instid1(VALU_DEP_2)
	v_fmac_f32_e32 v37, v39, v33
	v_dual_mul_f32 v1, v7, v13 :: v_dual_fmac_f32 v38, v41, v34
	v_mul_f32_e64 v3, v7, -v12
	v_dual_mul_f32 v7, v11, v17 :: v_dual_mul_f32 v11, v11, -v16
	s_delay_alu instid0(VALU_DEP_3) | instskip(NEXT) | instid1(VALU_DEP_4)
	v_dual_fma_f32 v31, -v31, v37, v35 :: v_dual_fmac_f32 v1, v12, v6
	v_fma_f32 v32, -v32, v38, v36
	s_delay_alu instid0(VALU_DEP_4) | instskip(NEXT) | instid1(VALU_DEP_3)
	v_fmac_f32_e32 v3, v13, v6
	v_div_fmas_f32 v31, v31, v33, v37
	s_mov_b32 vcc_lo, s0
	s_delay_alu instid0(VALU_DEP_3) | instskip(NEXT) | instid1(VALU_DEP_2)
	v_div_fmas_f32 v32, v32, v34, v38
	v_div_fixup_f32 v13, v31, v29, 1.0
	v_fmac_f32_e32 v11, v17, v10
	s_delay_alu instid0(VALU_DEP_3) | instskip(NEXT) | instid1(VALU_DEP_3)
	v_div_fixup_f32 v17, v32, v30, 1.0
	v_dual_fmac_f32 v7, v16, v10 :: v_dual_mul_f32 v10, v13, v1
	v_mul_f32_e32 v6, v3, v13
	v_sub_nc_u32_e64 v3, v0, 2 clamp
	s_delay_alu instid0(VALU_DEP_3) | instskip(NEXT) | instid1(VALU_DEP_3)
	v_dual_mul_f32 v12, v11, v17 :: v_dual_mul_f32 v16, v17, v7
	v_pk_mul_f32 v[30:31], v[6:7], v[20:21] op_sel:[0,1] op_sel_hi:[0,0] neg_lo:[0,1]
	v_pk_mul_f32 v[32:33], v[6:7], v[22:23] op_sel:[0,1] op_sel_hi:[0,0] neg_lo:[0,1]
	s_delay_alu instid0(VALU_DEP_3)
	v_pk_mul_f32 v[34:35], v[12:13], v[8:9] op_sel:[0,1] op_sel_hi:[0,0] neg_lo:[0,1]
	v_pk_mul_f32 v[36:37], v[12:13], v[26:27] op_sel:[0,1] op_sel_hi:[0,0] neg_lo:[0,1]
	v_pk_mul_f32 v[6:7], v[6:7], v[4:5] op_sel:[0,1] op_sel_hi:[0,0] neg_hi:[0,1]
	v_pk_fma_f32 v[20:21], v[20:21], v[10:11], v[30:31] op_sel_hi:[1,0,1]
	v_pk_fma_f32 v[22:23], v[22:23], v[10:11], v[32:33] op_sel_hi:[1,0,1]
	v_dual_lshlrev_b32 v1, 3, v3 :: v_dual_lshlrev_b32 v3, 3, v40
	v_pk_fma_f32 v[8:9], v[8:9], v[16:17], v[34:35] op_sel_hi:[1,0,1]
	s_delay_alu instid0(VALU_DEP_4)
	v_pk_add_f32 v[14:15], v[14:15], v[20:21] neg_lo:[0,1] neg_hi:[0,1]
	v_pk_mul_f32 v[12:13], v[12:13], v[24:25] op_sel:[0,1] op_sel_hi:[0,0] neg_hi:[0,1]
	v_pk_fma_f32 v[26:27], v[26:27], v[16:17], v[36:37] op_sel_hi:[1,0,1]
	v_pk_add_f32 v[18:19], v[18:19], v[22:23] neg_lo:[0,1] neg_hi:[0,1]
	v_pk_fma_f32 v[4:5], v[4:5], v[10:11], v[6:7] op_sel_hi:[1,0,1] neg_lo:[1,0,0] neg_hi:[1,0,0]
	v_pk_add_f32 v[8:9], v[14:15], v[8:9] neg_lo:[0,1] neg_hi:[0,1]
	v_pk_fma_f32 v[6:7], v[24:25], v[16:17], v[12:13] op_sel_hi:[1,0,1] neg_lo:[1,0,0] neg_hi:[1,0,0]
	v_min_u32_e32 v40, 27, v0
	v_pk_add_f32 v[10:11], v[18:19], v[26:27] neg_lo:[0,1] neg_hi:[0,1]
	ds_store_2addr_b64 v2, v[4:5], v[8:9] offset1:34
	ds_store_2addr_b64 v2, v[6:7], v[10:11] offset0:68 offset1:136
	s_wait_dscnt 0x0
	; wave barrier
	ds_load_2addr_b64 v[4:7], v1 offset1:34
	ds_load_2addr_b64 v[8:11], v3 offset0:2 offset1:36
	ds_load_2addr_b64 v[12:15], v2 offset1:34
	ds_load_2addr_b64 v[16:19], v2 offset0:68 offset1:136
	s_wait_dscnt 0x2
	v_mul_f32_e32 v30, v11, v11
	s_delay_alu instid0(VALU_DEP_1) | instskip(NEXT) | instid1(VALU_DEP_1)
	v_dual_mul_f32 v29, v7, v7 :: v_dual_fmac_f32 v30, v10, v10
	v_fmac_f32_e32 v29, v6, v6
	s_delay_alu instid0(VALU_DEP_2) | instskip(NEXT) | instid1(VALU_DEP_2)
	v_div_scale_f32 v32, null, v30, v30, 1.0
	v_div_scale_f32 v31, null, v29, v29, 1.0
	v_div_scale_f32 v35, vcc_lo, 1.0, v29, 1.0
	s_delay_alu instid0(VALU_DEP_3) | instskip(NEXT) | instid1(VALU_DEP_2)
	v_rcp_f32_e32 v34, v32
	v_rcp_f32_e32 v33, v31
	v_div_scale_f32 v36, s0, 1.0, v30, 1.0
	s_delay_alu instid0(TRANS32_DEP_2) | instskip(NEXT) | instid1(TRANS32_DEP_1)
	v_fma_f32 v21, -v32, v34, 1.0
	v_fma_f32 v20, -v31, v33, 1.0
	s_delay_alu instid0(VALU_DEP_1) | instskip(SKIP_4) | instid1(VALU_DEP_1)
	v_dual_fmac_f32 v33, v20, v33 :: v_dual_fmac_f32 v34, v21, v34
	ds_load_2addr_b64 v[20:23], v1 offset0:68 offset1:136
	ds_load_2addr_b64 v[24:27], v3 offset0:70 offset1:138
	s_wait_dscnt 0x0
	; wave barrier
	v_dual_mul_f32 v37, v35, v33 :: v_dual_mul_f32 v38, v36, v34
	v_dual_fma_f32 v39, -v31, v37, v35 :: v_dual_fma_f32 v41, -v32, v38, v36
	s_delay_alu instid0(VALU_DEP_1) | instskip(NEXT) | instid1(VALU_DEP_2)
	v_fmac_f32_e32 v37, v39, v33
	v_dual_mul_f32 v1, v7, v13 :: v_dual_fmac_f32 v38, v41, v34
	v_mul_f32_e64 v3, v7, -v12
	v_dual_mul_f32 v7, v11, v17 :: v_dual_mul_f32 v11, v11, -v16
	s_delay_alu instid0(VALU_DEP_3) | instskip(NEXT) | instid1(VALU_DEP_4)
	v_dual_fma_f32 v31, -v31, v37, v35 :: v_dual_fmac_f32 v1, v12, v6
	v_fma_f32 v32, -v32, v38, v36
	s_delay_alu instid0(VALU_DEP_4) | instskip(NEXT) | instid1(VALU_DEP_3)
	v_fmac_f32_e32 v3, v13, v6
	v_div_fmas_f32 v31, v31, v33, v37
	s_mov_b32 vcc_lo, s0
	s_delay_alu instid0(VALU_DEP_3) | instskip(NEXT) | instid1(VALU_DEP_2)
	v_div_fmas_f32 v32, v32, v34, v38
	v_div_fixup_f32 v13, v31, v29, 1.0
	v_fmac_f32_e32 v11, v17, v10
	s_delay_alu instid0(VALU_DEP_3) | instskip(NEXT) | instid1(VALU_DEP_3)
	v_div_fixup_f32 v17, v32, v30, 1.0
	v_dual_fmac_f32 v7, v16, v10 :: v_dual_mul_f32 v10, v13, v1
	v_mul_f32_e32 v6, v3, v13
	v_sub_nc_u32_e64 v3, v0, 4 clamp
	s_delay_alu instid0(VALU_DEP_3) | instskip(NEXT) | instid1(VALU_DEP_3)
	v_dual_mul_f32 v12, v11, v17 :: v_dual_mul_f32 v16, v17, v7
	v_pk_mul_f32 v[30:31], v[6:7], v[20:21] op_sel:[0,1] op_sel_hi:[0,0] neg_lo:[0,1]
	v_pk_mul_f32 v[32:33], v[6:7], v[22:23] op_sel:[0,1] op_sel_hi:[0,0] neg_lo:[0,1]
	s_delay_alu instid0(VALU_DEP_3)
	v_pk_mul_f32 v[34:35], v[12:13], v[8:9] op_sel:[0,1] op_sel_hi:[0,0] neg_lo:[0,1]
	v_pk_mul_f32 v[36:37], v[12:13], v[26:27] op_sel:[0,1] op_sel_hi:[0,0] neg_lo:[0,1]
	v_pk_mul_f32 v[6:7], v[6:7], v[4:5] op_sel:[0,1] op_sel_hi:[0,0] neg_hi:[0,1]
	v_pk_fma_f32 v[20:21], v[20:21], v[10:11], v[30:31] op_sel_hi:[1,0,1]
	v_pk_fma_f32 v[22:23], v[22:23], v[10:11], v[32:33] op_sel_hi:[1,0,1]
	v_dual_lshlrev_b32 v1, 3, v3 :: v_dual_lshlrev_b32 v3, 3, v40
	v_pk_fma_f32 v[8:9], v[8:9], v[16:17], v[34:35] op_sel_hi:[1,0,1]
	s_delay_alu instid0(VALU_DEP_4)
	v_pk_add_f32 v[14:15], v[14:15], v[20:21] neg_lo:[0,1] neg_hi:[0,1]
	v_pk_mul_f32 v[12:13], v[12:13], v[24:25] op_sel:[0,1] op_sel_hi:[0,0] neg_hi:[0,1]
	v_pk_fma_f32 v[26:27], v[26:27], v[16:17], v[36:37] op_sel_hi:[1,0,1]
	v_pk_add_f32 v[18:19], v[18:19], v[22:23] neg_lo:[0,1] neg_hi:[0,1]
	v_pk_fma_f32 v[4:5], v[4:5], v[10:11], v[6:7] op_sel_hi:[1,0,1] neg_lo:[1,0,0] neg_hi:[1,0,0]
	v_pk_add_f32 v[8:9], v[14:15], v[8:9] neg_lo:[0,1] neg_hi:[0,1]
	v_pk_fma_f32 v[6:7], v[24:25], v[16:17], v[12:13] op_sel_hi:[1,0,1] neg_lo:[1,0,0] neg_hi:[1,0,0]
	v_min_u32_e32 v40, 23, v0
	v_pk_add_f32 v[10:11], v[18:19], v[26:27] neg_lo:[0,1] neg_hi:[0,1]
	ds_store_2addr_b64 v2, v[4:5], v[8:9] offset1:34
	ds_store_2addr_b64 v2, v[6:7], v[10:11] offset0:68 offset1:136
	s_wait_dscnt 0x0
	; wave barrier
	ds_load_2addr_b64 v[4:7], v1 offset1:34
	ds_load_2addr_b64 v[8:11], v3 offset0:4 offset1:38
	ds_load_2addr_b64 v[12:15], v2 offset1:34
	ds_load_2addr_b64 v[16:19], v2 offset0:68 offset1:136
	s_wait_dscnt 0x2
	v_mul_f32_e32 v30, v11, v11
	s_delay_alu instid0(VALU_DEP_1) | instskip(NEXT) | instid1(VALU_DEP_1)
	v_dual_mul_f32 v29, v7, v7 :: v_dual_fmac_f32 v30, v10, v10
	v_fmac_f32_e32 v29, v6, v6
	s_delay_alu instid0(VALU_DEP_2) | instskip(NEXT) | instid1(VALU_DEP_2)
	v_div_scale_f32 v32, null, v30, v30, 1.0
	v_div_scale_f32 v31, null, v29, v29, 1.0
	v_div_scale_f32 v35, vcc_lo, 1.0, v29, 1.0
	s_delay_alu instid0(VALU_DEP_3) | instskip(NEXT) | instid1(VALU_DEP_2)
	v_rcp_f32_e32 v34, v32
	v_rcp_f32_e32 v33, v31
	v_div_scale_f32 v36, s0, 1.0, v30, 1.0
	s_delay_alu instid0(TRANS32_DEP_2) | instskip(NEXT) | instid1(TRANS32_DEP_1)
	v_fma_f32 v21, -v32, v34, 1.0
	v_fma_f32 v20, -v31, v33, 1.0
	s_delay_alu instid0(VALU_DEP_1) | instskip(SKIP_4) | instid1(VALU_DEP_1)
	v_dual_fmac_f32 v33, v20, v33 :: v_dual_fmac_f32 v34, v21, v34
	ds_load_2addr_b64 v[20:23], v1 offset0:68 offset1:136
	ds_load_2addr_b64 v[24:27], v3 offset0:72 offset1:140
	s_wait_dscnt 0x0
	; wave barrier
	v_dual_mul_f32 v37, v35, v33 :: v_dual_mul_f32 v38, v36, v34
	v_dual_fma_f32 v39, -v31, v37, v35 :: v_dual_fma_f32 v41, -v32, v38, v36
	s_delay_alu instid0(VALU_DEP_1) | instskip(NEXT) | instid1(VALU_DEP_2)
	v_fmac_f32_e32 v37, v39, v33
	v_dual_mul_f32 v1, v7, v13 :: v_dual_fmac_f32 v38, v41, v34
	v_mul_f32_e64 v3, v7, -v12
	v_dual_mul_f32 v7, v11, v17 :: v_dual_mul_f32 v11, v11, -v16
	s_delay_alu instid0(VALU_DEP_3) | instskip(NEXT) | instid1(VALU_DEP_4)
	v_dual_fma_f32 v31, -v31, v37, v35 :: v_dual_fmac_f32 v1, v12, v6
	v_fma_f32 v32, -v32, v38, v36
	s_delay_alu instid0(VALU_DEP_4) | instskip(NEXT) | instid1(VALU_DEP_3)
	v_fmac_f32_e32 v3, v13, v6
	v_div_fmas_f32 v31, v31, v33, v37
	s_mov_b32 vcc_lo, s0
	s_delay_alu instid0(VALU_DEP_3) | instskip(NEXT) | instid1(VALU_DEP_2)
	v_div_fmas_f32 v32, v32, v34, v38
	v_div_fixup_f32 v13, v31, v29, 1.0
	v_fmac_f32_e32 v11, v17, v10
	s_delay_alu instid0(VALU_DEP_3) | instskip(NEXT) | instid1(VALU_DEP_3)
	v_div_fixup_f32 v17, v32, v30, 1.0
	v_dual_fmac_f32 v7, v16, v10 :: v_dual_mul_f32 v10, v13, v1
	v_mul_f32_e32 v6, v3, v13
	v_sub_nc_u32_e64 v3, v0, 8 clamp
	s_delay_alu instid0(VALU_DEP_3) | instskip(NEXT) | instid1(VALU_DEP_3)
	v_dual_mul_f32 v12, v11, v17 :: v_dual_mul_f32 v16, v17, v7
	v_pk_mul_f32 v[30:31], v[6:7], v[20:21] op_sel:[0,1] op_sel_hi:[0,0] neg_lo:[0,1]
	v_pk_mul_f32 v[32:33], v[6:7], v[22:23] op_sel:[0,1] op_sel_hi:[0,0] neg_lo:[0,1]
	s_delay_alu instid0(VALU_DEP_3)
	v_pk_mul_f32 v[34:35], v[12:13], v[8:9] op_sel:[0,1] op_sel_hi:[0,0] neg_lo:[0,1]
	v_pk_mul_f32 v[36:37], v[12:13], v[26:27] op_sel:[0,1] op_sel_hi:[0,0] neg_lo:[0,1]
	v_pk_mul_f32 v[6:7], v[6:7], v[4:5] op_sel:[0,1] op_sel_hi:[0,0] neg_hi:[0,1]
	v_pk_fma_f32 v[20:21], v[20:21], v[10:11], v[30:31] op_sel_hi:[1,0,1]
	v_pk_fma_f32 v[22:23], v[22:23], v[10:11], v[32:33] op_sel_hi:[1,0,1]
	v_dual_lshlrev_b32 v1, 3, v3 :: v_dual_lshlrev_b32 v3, 3, v40
	v_pk_fma_f32 v[8:9], v[8:9], v[16:17], v[34:35] op_sel_hi:[1,0,1]
	s_delay_alu instid0(VALU_DEP_4)
	v_pk_add_f32 v[14:15], v[14:15], v[20:21] neg_lo:[0,1] neg_hi:[0,1]
	v_pk_mul_f32 v[12:13], v[12:13], v[24:25] op_sel:[0,1] op_sel_hi:[0,0] neg_hi:[0,1]
	v_pk_fma_f32 v[26:27], v[26:27], v[16:17], v[36:37] op_sel_hi:[1,0,1]
	v_pk_add_f32 v[18:19], v[18:19], v[22:23] neg_lo:[0,1] neg_hi:[0,1]
	v_pk_fma_f32 v[4:5], v[4:5], v[10:11], v[6:7] op_sel_hi:[1,0,1] neg_lo:[1,0,0] neg_hi:[1,0,0]
	v_pk_add_f32 v[8:9], v[14:15], v[8:9] neg_lo:[0,1] neg_hi:[0,1]
	v_pk_fma_f32 v[6:7], v[24:25], v[16:17], v[12:13] op_sel_hi:[1,0,1] neg_lo:[1,0,0] neg_hi:[1,0,0]
	s_delay_alu instid0(VALU_DEP_4)
	v_pk_add_f32 v[10:11], v[18:19], v[26:27] neg_lo:[0,1] neg_hi:[0,1]
	ds_store_2addr_b64 v2, v[4:5], v[8:9] offset1:34
	ds_store_2addr_b64 v2, v[6:7], v[10:11] offset0:68 offset1:136
	s_wait_dscnt 0x0
	; wave barrier
	ds_load_2addr_b64 v[4:7], v1 offset1:34
	ds_load_2addr_b64 v[8:11], v3 offset0:8 offset1:42
	ds_load_2addr_b64 v[12:15], v2 offset1:34
	ds_load_2addr_b64 v[16:19], v2 offset0:68 offset1:136
	s_wait_dscnt 0x2
	v_mul_f32_e32 v30, v11, v11
	s_delay_alu instid0(VALU_DEP_1) | instskip(NEXT) | instid1(VALU_DEP_1)
	v_dual_mul_f32 v29, v7, v7 :: v_dual_fmac_f32 v30, v10, v10
	v_fmac_f32_e32 v29, v6, v6
	s_delay_alu instid0(VALU_DEP_2) | instskip(NEXT) | instid1(VALU_DEP_2)
	v_div_scale_f32 v32, null, v30, v30, 1.0
	v_div_scale_f32 v31, null, v29, v29, 1.0
	v_div_scale_f32 v35, vcc_lo, 1.0, v29, 1.0
	s_delay_alu instid0(VALU_DEP_3) | instskip(NEXT) | instid1(VALU_DEP_2)
	v_rcp_f32_e32 v34, v32
	v_rcp_f32_e32 v33, v31
	v_div_scale_f32 v36, s0, 1.0, v30, 1.0
	s_delay_alu instid0(TRANS32_DEP_2) | instskip(NEXT) | instid1(TRANS32_DEP_1)
	v_fma_f32 v21, -v32, v34, 1.0
	v_fma_f32 v20, -v31, v33, 1.0
	s_delay_alu instid0(VALU_DEP_1) | instskip(SKIP_4) | instid1(VALU_DEP_1)
	v_dual_fmac_f32 v33, v20, v33 :: v_dual_fmac_f32 v34, v21, v34
	ds_load_2addr_b64 v[20:23], v1 offset0:68 offset1:136
	ds_load_2addr_b64 v[24:27], v3 offset0:76 offset1:144
	s_wait_dscnt 0x0
	; wave barrier
	v_dual_mul_f32 v37, v35, v33 :: v_dual_mul_f32 v38, v36, v34
	v_dual_fma_f32 v39, -v31, v37, v35 :: v_dual_fma_f32 v40, -v32, v38, v36
	s_delay_alu instid0(VALU_DEP_1) | instskip(NEXT) | instid1(VALU_DEP_2)
	v_fmac_f32_e32 v37, v39, v33
	v_dual_mul_f32 v1, v7, v13 :: v_dual_fmac_f32 v38, v40, v34
	v_mul_f32_e64 v3, v7, -v12
	v_dual_mul_f32 v7, v11, v17 :: v_dual_mul_f32 v11, v11, -v16
	s_delay_alu instid0(VALU_DEP_3) | instskip(NEXT) | instid1(VALU_DEP_4)
	v_dual_fma_f32 v31, -v31, v37, v35 :: v_dual_fmac_f32 v1, v12, v6
	v_fma_f32 v32, -v32, v38, v36
	s_delay_alu instid0(VALU_DEP_4) | instskip(NEXT) | instid1(VALU_DEP_3)
	v_fmac_f32_e32 v3, v13, v6
	v_div_fmas_f32 v31, v31, v33, v37
	s_mov_b32 vcc_lo, s0
	s_delay_alu instid0(VALU_DEP_3) | instskip(SKIP_1) | instid1(VALU_DEP_3)
	v_div_fmas_f32 v32, v32, v34, v38
	v_cmp_gt_u32_e32 vcc_lo, 16, v0
	v_div_fixup_f32 v13, v31, v29, 1.0
	v_ashrrev_i32_e32 v29, 31, v28
	s_delay_alu instid0(VALU_DEP_4) | instskip(NEXT) | instid1(VALU_DEP_3)
	v_div_fixup_f32 v12, v32, v30, 1.0
	v_mul_f32_e32 v0, v13, v1
	v_dual_fmac_f32 v11, v17, v10 :: v_dual_mul_f32 v6, v3, v13
	s_delay_alu instid0(VALU_DEP_1) | instskip(NEXT) | instid1(VALU_DEP_1)
	v_dual_fmac_f32 v7, v16, v10 :: v_dual_mul_f32 v10, v11, v12
	v_pk_mul_f32 v[16:17], v[6:7], v[20:21] op_sel:[0,1] op_sel_hi:[0,0] neg_lo:[0,1]
	v_pk_mul_f32 v[30:31], v[6:7], v[22:23] op_sel:[0,1] op_sel_hi:[0,0] neg_lo:[0,1]
	v_mul_f32_e32 v12, v12, v7
	s_delay_alu instid0(VALU_DEP_4)
	v_pk_mul_f32 v[32:33], v[10:11], v[8:9] op_sel:[0,1] op_sel_hi:[0,0] neg_lo:[0,1]
	v_pk_mul_f32 v[34:35], v[10:11], v[26:27] op_sel:[0,1] op_sel_hi:[0,0] neg_lo:[0,1]
	v_pk_fma_f32 v[16:17], v[20:21], v[0:1], v[16:17] op_sel_hi:[1,0,1]
	v_pk_fma_f32 v[20:21], v[22:23], v[0:1], v[30:31] op_sel_hi:[1,0,1]
	v_pk_mul_f32 v[6:7], v[6:7], v[4:5] op_sel:[0,1] op_sel_hi:[0,0] neg_hi:[0,1]
	v_pk_fma_f32 v[8:9], v[8:9], v[12:13], v[32:33] op_sel_hi:[1,0,1]
	v_pk_mul_f32 v[10:11], v[10:11], v[24:25] op_sel:[0,1] op_sel_hi:[0,0] neg_hi:[0,1]
	v_pk_add_f32 v[14:15], v[14:15], v[16:17] neg_lo:[0,1] neg_hi:[0,1]
	v_pk_fma_f32 v[22:23], v[26:27], v[12:13], v[34:35] op_sel_hi:[1,0,1]
	v_pk_add_f32 v[16:17], v[18:19], v[20:21] neg_lo:[0,1] neg_hi:[0,1]
	v_pk_fma_f32 v[4:5], v[4:5], v[0:1], v[6:7] op_sel_hi:[1,0,1] neg_lo:[1,0,0] neg_hi:[1,0,0]
	v_lshl_add_u64 v[0:1], v[28:29], 3, s[10:11]
	v_pk_add_f32 v[8:9], v[14:15], v[8:9] neg_lo:[0,1] neg_hi:[0,1]
	v_pk_fma_f32 v[6:7], v[24:25], v[12:13], v[10:11] op_sel_hi:[1,0,1] neg_lo:[1,0,0] neg_hi:[1,0,0]
	v_pk_add_f32 v[10:11], v[16:17], v[22:23] neg_lo:[0,1] neg_hi:[0,1]
	ds_store_2addr_b64 v2, v[4:5], v[8:9] offset1:34
	ds_store_2addr_b64 v2, v[6:7], v[10:11] offset0:68 offset1:136
	s_wait_dscnt 0x0
	; wave barrier
	s_and_saveexec_b32 s0, vcc_lo
	s_cbranch_execz .LBB46_2
; %bb.1:
	v_add_nc_u32_e32 v3, 0x110, v2
	v_add_nc_u32_e32 v8, 0x220, v2
	;; [unrolled: 1-line block ×3, first 2 shown]
	ds_load_2addr_b64 v[4:7], v3 offset1:16
	ds_load_b64 v[8:9], v8
	ds_load_b32 v10, v11
	ds_load_b64 v[12:13], v11
	ds_load_b64 v[14:15], v2 offset:128
	s_wait_dscnt 0x4
	v_pk_mul_f32 v[16:17], v[4:5], v[6:7] op_sel:[1,1] op_sel_hi:[1,0] neg_lo:[0,1]
	s_wait_dscnt 0x0
	v_pk_mul_f32 v[18:19], v[14:15], v[8:9] op_sel:[1,1] op_sel_hi:[1,0] neg_lo:[0,1]
	s_delay_alu instid0(VALU_DEP_2) | instskip(SKIP_1) | instid1(VALU_DEP_3)
	v_pk_fma_f32 v[16:17], v[6:7], v[4:5], v[16:17] op_sel_hi:[1,0,1]
	v_pk_mul_f32 v[28:29], v[14:15], v[12:13] op_sel:[1,1] op_sel_hi:[1,0] neg_lo:[0,1]
	v_pk_fma_f32 v[18:19], v[8:9], v[14:15], v[18:19] op_sel_hi:[1,0,1]
	s_delay_alu instid0(VALU_DEP_1) | instskip(SKIP_4) | instid1(VALU_DEP_1)
	v_pk_add_f32 v[16:17], v[16:17], v[18:19] neg_lo:[0,1] neg_hi:[0,1]
	ds_load_2addr_b32 v[18:19], v11 offset0:1 offset1:32
	ds_load_b32 v20, v11 offset:132
	ds_load_b64 v[22:23], v11 offset:128
	v_mul_f32_e32 v3, v17, v17
	v_fmac_f32_e32 v3, v16, v16
	s_delay_alu instid0(VALU_DEP_1) | instskip(SKIP_2) | instid1(VALU_DEP_2)
	v_div_scale_f32 v26, null, v3, v3, 1.0
	s_wait_dscnt 0x2
	v_pk_mul_f32 v[24:25], v[18:19], v[6:7] op_sel:[0,1] op_sel_hi:[0,0] neg_lo:[0,1]
	v_rcp_f32_e32 v30, v26
	v_mov_b32_e32 v18, v19
	s_delay_alu instid0(TRANS32_DEP_1) | instskip(NEXT) | instid1(VALU_DEP_1)
	v_fma_f32 v21, -v26, v30, 1.0
	v_fmac_f32_e32 v30, v21, v30
	v_div_scale_f32 v27, vcc_lo, 1.0, v3, 1.0
	s_delay_alu instid0(VALU_DEP_1) | instskip(NEXT) | instid1(VALU_DEP_1)
	v_mul_f32_e32 v11, v27, v30
	v_fma_f32 v21, -v26, v11, v27
	s_delay_alu instid0(VALU_DEP_1) | instskip(NEXT) | instid1(VALU_DEP_1)
	v_fmac_f32_e32 v11, v21, v30
	v_fma_f32 v19, -v26, v11, v27
	s_wait_dscnt 0x1
	v_pk_mul_f32 v[20:21], v[20:21], v[8:9] op_sel:[0,1] op_sel_hi:[0,0] neg_lo:[0,1]
	s_wait_dscnt 0x0
	v_pk_mul_f32 v[26:27], v[4:5], v[22:23] op_sel:[1,1] op_sel_hi:[1,0] neg_lo:[0,1]
	v_div_fmas_f32 v11, v19, v30, v11
	s_delay_alu instid0(VALU_DEP_3) | instskip(NEXT) | instid1(VALU_DEP_3)
	v_pk_fma_f32 v[8:9], v[8:9], v[18:19], v[20:21] op_sel_hi:[1,0,1]
	v_pk_fma_f32 v[4:5], v[22:23], v[4:5], v[26:27] op_sel_hi:[1,0,1]
	v_fma_f32 v18, v16, 0, -v17
	s_delay_alu instid0(VALU_DEP_4) | instskip(SKIP_2) | instid1(VALU_DEP_3)
	v_pk_fma_f32 v[6:7], v[6:7], v[10:11], v[24:25] op_sel_hi:[1,0,1]
	v_div_fixup_f32 v3, v11, v3, 1.0
	v_pk_fma_f32 v[10:11], v[12:13], v[14:15], v[28:29] op_sel_hi:[1,0,1]
	v_pk_add_f32 v[6:7], v[6:7], v[8:9] neg_lo:[0,1] neg_hi:[0,1]
	s_delay_alu instid0(VALU_DEP_3) | instskip(NEXT) | instid1(VALU_DEP_3)
	v_dual_fma_f32 v9, 0, v17, v16 :: v_dual_mul_f32 v8, v18, v3
	v_pk_add_f32 v[4:5], v[4:5], v[10:11] neg_lo:[0,1] neg_hi:[0,1]
	s_delay_alu instid0(VALU_DEP_2) | instskip(NEXT) | instid1(VALU_DEP_3)
	v_mul_f32_e32 v10, v9, v3
	v_pk_mul_f32 v[12:13], v[8:9], v[6:7] op_sel:[0,1] op_sel_hi:[0,0] neg_lo:[0,1]
	s_delay_alu instid0(VALU_DEP_3) | instskip(NEXT) | instid1(VALU_DEP_2)
	v_pk_mul_f32 v[8:9], v[8:9], v[4:5] op_sel:[0,1] op_sel_hi:[0,0] neg_lo:[0,1]
	v_pk_fma_f32 v[6:7], v[6:7], v[10:11], v[12:13] op_sel_hi:[1,0,1]
	s_delay_alu instid0(VALU_DEP_2)
	v_pk_fma_f32 v[4:5], v[4:5], v[10:11], v[8:9] op_sel_hi:[1,0,1]
	ds_store_2addr_b64 v2, v[6:7], v[4:5] offset0:102 offset1:118
.LBB46_2:
	s_or_b32 exec_lo, exec_lo, s0
	s_wait_dscnt 0x0
	; wave barrier
	ds_load_b64 v[2:3], v2 offset:816
	s_wait_dscnt 0x0
	global_store_b64 v[0:1], v[2:3], off
	s_endpgm
	.section	.rodata,"a",@progbits
	.p2align	6, 0x0
	.amdhsa_kernel _ZN9rocsparseL49gtsv_nopivot_strided_batch_pcr_pow2_shared_kernelILj32E21rocsparse_complex_numIfEEEviiiPKT0_S5_S5_PS3_
		.amdhsa_group_segment_fixed_size 1352
		.amdhsa_private_segment_fixed_size 0
		.amdhsa_kernarg_size 48
		.amdhsa_user_sgpr_count 2
		.amdhsa_user_sgpr_dispatch_ptr 0
		.amdhsa_user_sgpr_queue_ptr 0
		.amdhsa_user_sgpr_kernarg_segment_ptr 1
		.amdhsa_user_sgpr_dispatch_id 0
		.amdhsa_user_sgpr_kernarg_preload_length 0
		.amdhsa_user_sgpr_kernarg_preload_offset 0
		.amdhsa_user_sgpr_private_segment_size 0
		.amdhsa_wavefront_size32 1
		.amdhsa_uses_dynamic_stack 0
		.amdhsa_enable_private_segment 0
		.amdhsa_system_sgpr_workgroup_id_x 1
		.amdhsa_system_sgpr_workgroup_id_y 0
		.amdhsa_system_sgpr_workgroup_id_z 0
		.amdhsa_system_sgpr_workgroup_info 0
		.amdhsa_system_vgpr_workitem_id 0
		.amdhsa_next_free_vgpr 42
		.amdhsa_next_free_sgpr 12
		.amdhsa_named_barrier_count 0
		.amdhsa_reserve_vcc 1
		.amdhsa_float_round_mode_32 0
		.amdhsa_float_round_mode_16_64 0
		.amdhsa_float_denorm_mode_32 3
		.amdhsa_float_denorm_mode_16_64 3
		.amdhsa_fp16_overflow 0
		.amdhsa_memory_ordered 1
		.amdhsa_forward_progress 1
		.amdhsa_inst_pref_size 21
		.amdhsa_round_robin_scheduling 0
		.amdhsa_exception_fp_ieee_invalid_op 0
		.amdhsa_exception_fp_denorm_src 0
		.amdhsa_exception_fp_ieee_div_zero 0
		.amdhsa_exception_fp_ieee_overflow 0
		.amdhsa_exception_fp_ieee_underflow 0
		.amdhsa_exception_fp_ieee_inexact 0
		.amdhsa_exception_int_div_zero 0
	.end_amdhsa_kernel
	.section	.text._ZN9rocsparseL49gtsv_nopivot_strided_batch_pcr_pow2_shared_kernelILj32E21rocsparse_complex_numIfEEEviiiPKT0_S5_S5_PS3_,"axG",@progbits,_ZN9rocsparseL49gtsv_nopivot_strided_batch_pcr_pow2_shared_kernelILj32E21rocsparse_complex_numIfEEEviiiPKT0_S5_S5_PS3_,comdat
.Lfunc_end46:
	.size	_ZN9rocsparseL49gtsv_nopivot_strided_batch_pcr_pow2_shared_kernelILj32E21rocsparse_complex_numIfEEEviiiPKT0_S5_S5_PS3_, .Lfunc_end46-_ZN9rocsparseL49gtsv_nopivot_strided_batch_pcr_pow2_shared_kernelILj32E21rocsparse_complex_numIfEEEviiiPKT0_S5_S5_PS3_
                                        ; -- End function
	.set _ZN9rocsparseL49gtsv_nopivot_strided_batch_pcr_pow2_shared_kernelILj32E21rocsparse_complex_numIfEEEviiiPKT0_S5_S5_PS3_.num_vgpr, 42
	.set _ZN9rocsparseL49gtsv_nopivot_strided_batch_pcr_pow2_shared_kernelILj32E21rocsparse_complex_numIfEEEviiiPKT0_S5_S5_PS3_.num_agpr, 0
	.set _ZN9rocsparseL49gtsv_nopivot_strided_batch_pcr_pow2_shared_kernelILj32E21rocsparse_complex_numIfEEEviiiPKT0_S5_S5_PS3_.numbered_sgpr, 12
	.set _ZN9rocsparseL49gtsv_nopivot_strided_batch_pcr_pow2_shared_kernelILj32E21rocsparse_complex_numIfEEEviiiPKT0_S5_S5_PS3_.num_named_barrier, 0
	.set _ZN9rocsparseL49gtsv_nopivot_strided_batch_pcr_pow2_shared_kernelILj32E21rocsparse_complex_numIfEEEviiiPKT0_S5_S5_PS3_.private_seg_size, 0
	.set _ZN9rocsparseL49gtsv_nopivot_strided_batch_pcr_pow2_shared_kernelILj32E21rocsparse_complex_numIfEEEviiiPKT0_S5_S5_PS3_.uses_vcc, 1
	.set _ZN9rocsparseL49gtsv_nopivot_strided_batch_pcr_pow2_shared_kernelILj32E21rocsparse_complex_numIfEEEviiiPKT0_S5_S5_PS3_.uses_flat_scratch, 0
	.set _ZN9rocsparseL49gtsv_nopivot_strided_batch_pcr_pow2_shared_kernelILj32E21rocsparse_complex_numIfEEEviiiPKT0_S5_S5_PS3_.has_dyn_sized_stack, 0
	.set _ZN9rocsparseL49gtsv_nopivot_strided_batch_pcr_pow2_shared_kernelILj32E21rocsparse_complex_numIfEEEviiiPKT0_S5_S5_PS3_.has_recursion, 0
	.set _ZN9rocsparseL49gtsv_nopivot_strided_batch_pcr_pow2_shared_kernelILj32E21rocsparse_complex_numIfEEEviiiPKT0_S5_S5_PS3_.has_indirect_call, 0
	.section	.AMDGPU.csdata,"",@progbits
; Kernel info:
; codeLenInByte = 2636
; TotalNumSgprs: 14
; NumVgprs: 42
; ScratchSize: 0
; MemoryBound: 0
; FloatMode: 240
; IeeeMode: 1
; LDSByteSize: 1352 bytes/workgroup (compile time only)
; SGPRBlocks: 0
; VGPRBlocks: 2
; NumSGPRsForWavesPerEU: 14
; NumVGPRsForWavesPerEU: 42
; NamedBarCnt: 0
; Occupancy: 16
; WaveLimiterHint : 0
; COMPUTE_PGM_RSRC2:SCRATCH_EN: 0
; COMPUTE_PGM_RSRC2:USER_SGPR: 2
; COMPUTE_PGM_RSRC2:TRAP_HANDLER: 0
; COMPUTE_PGM_RSRC2:TGID_X_EN: 1
; COMPUTE_PGM_RSRC2:TGID_Y_EN: 0
; COMPUTE_PGM_RSRC2:TGID_Z_EN: 0
; COMPUTE_PGM_RSRC2:TIDIG_COMP_CNT: 0
	.section	.text._ZN9rocsparseL49gtsv_nopivot_strided_batch_pcr_pow2_shared_kernelILj64E21rocsparse_complex_numIfEEEviiiPKT0_S5_S5_PS3_,"axG",@progbits,_ZN9rocsparseL49gtsv_nopivot_strided_batch_pcr_pow2_shared_kernelILj64E21rocsparse_complex_numIfEEEviiiPKT0_S5_S5_PS3_,comdat
	.globl	_ZN9rocsparseL49gtsv_nopivot_strided_batch_pcr_pow2_shared_kernelILj64E21rocsparse_complex_numIfEEEviiiPKT0_S5_S5_PS3_ ; -- Begin function _ZN9rocsparseL49gtsv_nopivot_strided_batch_pcr_pow2_shared_kernelILj64E21rocsparse_complex_numIfEEEviiiPKT0_S5_S5_PS3_
	.p2align	8
	.type	_ZN9rocsparseL49gtsv_nopivot_strided_batch_pcr_pow2_shared_kernelILj64E21rocsparse_complex_numIfEEEviiiPKT0_S5_S5_PS3_,@function
_ZN9rocsparseL49gtsv_nopivot_strided_batch_pcr_pow2_shared_kernelILj64E21rocsparse_complex_numIfEEEviiiPKT0_S5_S5_PS3_: ; @_ZN9rocsparseL49gtsv_nopivot_strided_batch_pcr_pow2_shared_kernelILj64E21rocsparse_complex_numIfEEEviiiPKT0_S5_S5_PS3_
; %bb.0:
	s_load_b32 s2, s[0:1], 0x8
	s_bfe_u32 s3, ttmp6, 0x4000c
	s_load_b256 s[4:11], s[0:1], 0x10
	s_add_co_i32 s3, s3, 1
	s_wait_xcnt 0x0
	s_and_b32 s0, ttmp6, 15
	s_mul_i32 s1, ttmp9, s3
	s_getreg_b32 s3, hwreg(HW_REG_IB_STS2, 6, 4)
	s_add_co_i32 s0, s0, s1
	s_cmp_eq_u32 s3, 0
	v_sub_nc_u32_e64 v1, v0, 1 clamp
	s_cselect_b32 s0, ttmp9, s0
	v_lshlrev_b32_e32 v2, 3, v0
	v_min_u32_e32 v3, 62, v0
	v_min_u32_e32 v37, 61, v0
	v_lshlrev_b32_e32 v1, 3, v1
	v_cmp_gt_u32_e64 s1, 32, v0
	v_add_nc_u32_e32 v38, 0x400, v2
	v_lshlrev_b32_e32 v3, 3, v3
	s_wait_kmcnt 0x0
	v_mad_u32 v28, s2, s0, v0
	s_clause 0x3
	global_load_b64 v[4:5], v28, s[4:5] scale_offset
	global_load_b64 v[6:7], v28, s[6:7] scale_offset
	;; [unrolled: 1-line block ×4, first 2 shown]
	s_wait_loadcnt 0x2
	ds_store_2addr_b64 v2, v[4:5], v[6:7] offset1:66
	s_wait_loadcnt 0x0
	ds_store_2addr_b64 v38, v[8:9], v[10:11] offset0:4 offset1:136
	s_wait_dscnt 0x0
	s_barrier_signal -1
	s_barrier_wait -1
	ds_load_2addr_b64 v[4:7], v1 offset1:66
	ds_load_2addr_b64 v[8:11], v3 offset0:1 offset1:67
	ds_load_2addr_b64 v[12:15], v2 offset1:66
	v_add_nc_u32_e32 v1, 0x400, v1
	s_wait_dscnt 0x2
	v_mul_f32_e32 v29, v7, v7
	ds_load_2addr_b64 v[16:19], v38 offset0:4 offset1:136
	v_fmac_f32_e32 v29, v6, v6
	v_add_nc_u32_e32 v3, 0x400, v3
	s_delay_alu instid0(VALU_DEP_2) | instskip(SKIP_1) | instid1(VALU_DEP_2)
	v_div_scale_f32 v31, null, v29, v29, 1.0
	v_div_scale_f32 v35, vcc_lo, 1.0, v29, 1.0
	v_rcp_f32_e32 v33, v31
	v_nop
	s_delay_alu instid0(TRANS32_DEP_1) | instskip(SKIP_1) | instid1(VALU_DEP_1)
	v_fma_f32 v20, -v31, v33, 1.0
	s_wait_dscnt 0x2
	v_dual_mul_f32 v30, v11, v11 :: v_dual_fmac_f32 v33, v20, v33
	s_delay_alu instid0(VALU_DEP_1) | instskip(SKIP_1) | instid1(VALU_DEP_3)
	v_fmac_f32_e32 v30, v10, v10
	v_sub_nc_u32_e64 v20, v0, 2 clamp
	v_mul_f32_e32 v39, v35, v33
	s_delay_alu instid0(VALU_DEP_3) | instskip(SKIP_1) | instid1(VALU_DEP_3)
	v_div_scale_f32 v32, null, v30, v30, 1.0
	v_div_scale_f32 v36, s0, 1.0, v30, 1.0
	v_dual_fma_f32 v41, -v31, v39, v35 :: v_dual_lshlrev_b32 v42, 3, v20
	s_delay_alu instid0(VALU_DEP_3) | instskip(NEXT) | instid1(VALU_DEP_1)
	v_rcp_f32_e32 v34, v32
	v_fmac_f32_e32 v39, v41, v33
	s_delay_alu instid0(TRANS32_DEP_1) | instskip(NEXT) | instid1(VALU_DEP_1)
	v_fma_f32 v21, -v32, v34, 1.0
	v_fmac_f32_e32 v34, v21, v34
	ds_load_2addr_b64 v[20:23], v1 offset0:4 offset1:136
	ds_load_2addr_b64 v[24:27], v3 offset0:5 offset1:137
	s_wait_dscnt 0x3
	v_dual_mul_f32 v1, v7, v13 :: v_dual_mul_f32 v3, v7, -v12
	s_wait_dscnt 0x2
	v_dual_mul_f32 v7, v11, v17 :: v_dual_mul_f32 v11, v11, -v16
	v_mul_f32_e32 v40, v36, v34
	s_delay_alu instid0(VALU_DEP_3) | instskip(SKIP_2) | instid1(VALU_DEP_2)
	v_dual_fmac_f32 v1, v12, v6 :: v_dual_fmac_f32 v3, v13, v6
	s_wait_dscnt 0x0
	s_barrier_signal -1
	v_fma_f32 v43, -v32, v40, v36
	s_barrier_wait -1
	s_delay_alu instid0(VALU_DEP_1) | instskip(SKIP_1) | instid1(VALU_DEP_1)
	v_fmac_f32_e32 v40, v43, v34
	v_fma_f32 v31, -v31, v39, v35
	v_div_fmas_f32 v31, v31, v33, v39
	s_mov_b32 vcc_lo, s0
	s_delay_alu instid0(VALU_DEP_1) | instskip(SKIP_1) | instid1(VALU_DEP_2)
	v_div_fixup_f32 v13, v31, v29, 1.0
	v_fmac_f32_e32 v11, v17, v10
	v_dual_fmac_f32 v7, v16, v10 :: v_dual_mul_f32 v10, v13, v1
	v_mul_f32_e32 v6, v3, v13
	v_dual_lshlrev_b32 v3, 3, v37 :: v_dual_fma_f32 v32, -v32, v40, v36
	s_delay_alu instid0(VALU_DEP_1) | instskip(NEXT) | instid1(VALU_DEP_1)
	v_div_fmas_f32 v32, v32, v34, v40
	v_div_fixup_f32 v17, v32, v30, 1.0
	s_delay_alu instid0(VALU_DEP_4) | instskip(SKIP_1) | instid1(VALU_DEP_3)
	v_pk_mul_f32 v[30:31], v[6:7], v[20:21] op_sel:[0,1] op_sel_hi:[0,0] neg_lo:[0,1]
	v_pk_mul_f32 v[32:33], v[6:7], v[22:23] op_sel:[0,1] op_sel_hi:[0,0] neg_lo:[0,1]
	v_dual_mul_f32 v12, v11, v17 :: v_dual_mul_f32 v16, v17, v7
	s_delay_alu instid0(VALU_DEP_3) | instskip(NEXT) | instid1(VALU_DEP_3)
	v_pk_fma_f32 v[20:21], v[20:21], v[10:11], v[30:31] op_sel_hi:[1,0,1]
	v_pk_fma_f32 v[22:23], v[22:23], v[10:11], v[32:33] op_sel_hi:[1,0,1]
	v_pk_mul_f32 v[6:7], v[6:7], v[4:5] op_sel:[0,1] op_sel_hi:[0,0] neg_hi:[0,1]
	s_delay_alu instid0(VALU_DEP_4)
	v_pk_mul_f32 v[34:35], v[12:13], v[8:9] op_sel:[0,1] op_sel_hi:[0,0] neg_lo:[0,1]
	v_pk_mul_f32 v[36:37], v[12:13], v[26:27] op_sel:[0,1] op_sel_hi:[0,0] neg_lo:[0,1]
	v_pk_add_f32 v[14:15], v[14:15], v[20:21] neg_lo:[0,1] neg_hi:[0,1]
	v_pk_mul_f32 v[12:13], v[12:13], v[24:25] op_sel:[0,1] op_sel_hi:[0,0] neg_hi:[0,1]
	v_pk_add_f32 v[18:19], v[18:19], v[22:23] neg_lo:[0,1] neg_hi:[0,1]
	v_pk_fma_f32 v[8:9], v[8:9], v[16:17], v[34:35] op_sel_hi:[1,0,1]
	v_pk_fma_f32 v[26:27], v[26:27], v[16:17], v[36:37] op_sel_hi:[1,0,1]
	v_pk_fma_f32 v[4:5], v[4:5], v[10:11], v[6:7] op_sel_hi:[1,0,1] neg_lo:[1,0,0] neg_hi:[1,0,0]
	v_pk_fma_f32 v[6:7], v[24:25], v[16:17], v[12:13] op_sel_hi:[1,0,1] neg_lo:[1,0,0] neg_hi:[1,0,0]
	v_min_u32_e32 v36, 59, v0
	v_pk_add_f32 v[8:9], v[14:15], v[8:9] neg_lo:[0,1] neg_hi:[0,1]
	v_pk_add_f32 v[10:11], v[18:19], v[26:27] neg_lo:[0,1] neg_hi:[0,1]
	ds_store_2addr_b64 v2, v[4:5], v[8:9] offset1:66
	ds_store_2addr_b64 v38, v[6:7], v[10:11] offset0:4 offset1:136
	s_wait_dscnt 0x0
	s_barrier_signal -1
	s_barrier_wait -1
	ds_load_2addr_b64 v[4:7], v42 offset1:66
	ds_load_2addr_b64 v[8:11], v3 offset0:2 offset1:68
	ds_load_2addr_b64 v[16:19], v38 offset0:4 offset1:136
	ds_load_2addr_b64 v[12:15], v2 offset1:66
	s_wait_dscnt 0x2
	v_mul_f32_e32 v29, v11, v11
	s_delay_alu instid0(VALU_DEP_1) | instskip(NEXT) | instid1(VALU_DEP_1)
	v_dual_mul_f32 v1, v7, v7 :: v_dual_fmac_f32 v29, v10, v10
	v_fmac_f32_e32 v1, v6, v6
	s_delay_alu instid0(VALU_DEP_2) | instskip(NEXT) | instid1(VALU_DEP_2)
	v_div_scale_f32 v31, null, v29, v29, 1.0
	v_div_scale_f32 v30, null, v1, v1, 1.0
	v_div_scale_f32 v34, vcc_lo, 1.0, v1, 1.0
	s_delay_alu instid0(VALU_DEP_3) | instskip(NEXT) | instid1(VALU_DEP_2)
	v_rcp_f32_e32 v33, v31
	v_rcp_f32_e32 v32, v30
	v_div_scale_f32 v35, s0, 1.0, v29, 1.0
	s_delay_alu instid0(TRANS32_DEP_2) | instskip(NEXT) | instid1(TRANS32_DEP_1)
	v_fma_f32 v21, -v31, v33, 1.0
	v_fma_f32 v20, -v30, v32, 1.0
	s_delay_alu instid0(VALU_DEP_1) | instskip(SKIP_2) | instid1(VALU_DEP_3)
	v_dual_fmac_f32 v33, v21, v33 :: v_dual_fmac_f32 v32, v20, v32
	v_sub_nc_u32_e64 v20, v0, 4 clamp
	v_add_nc_u32_e32 v21, 0x400, v42
	v_dual_mul_f32 v39, v35, v33 :: v_dual_mul_f32 v37, v34, v32
	s_delay_alu instid0(VALU_DEP_1) | instskip(NEXT) | instid1(VALU_DEP_1)
	v_dual_lshlrev_b32 v41, 3, v20 :: v_dual_fma_f32 v40, -v30, v37, v34
	v_dual_fma_f32 v42, -v31, v39, v35 :: v_dual_fmac_f32 v37, v40, v32
	s_wait_dscnt 0x1
	v_dual_mul_f32 v40, v11, v17 :: v_dual_add_nc_u32 v3, 0x400, v3
	s_delay_alu instid0(VALU_DEP_2) | instskip(NEXT) | instid1(VALU_DEP_2)
	v_dual_fmac_f32 v39, v42, v33 :: v_dual_mul_f32 v11, v11, -v16
	v_dual_fma_f32 v30, -v30, v37, v34 :: v_dual_fmac_f32 v40, v16, v10
	ds_load_2addr_b64 v[20:23], v21 offset0:4 offset1:136
	ds_load_2addr_b64 v[24:27], v3 offset0:6 offset1:138
	s_wait_dscnt 0x2
	v_dual_mul_f32 v3, v7, v13 :: v_dual_mul_f32 v7, v7, -v12
	v_fma_f32 v31, -v31, v39, v35
	v_div_fmas_f32 v30, v30, v32, v37
	s_mov_b32 vcc_lo, s0
	v_fmac_f32_e32 v11, v17, v10
	v_fmac_f32_e32 v7, v13, v6
	v_div_fmas_f32 v31, v31, v33, v39
	v_div_fixup_f32 v1, v30, v1, 1.0
	s_wait_dscnt 0x0
	s_barrier_signal -1
	s_barrier_wait -1
	v_div_fixup_f32 v13, v31, v29, 1.0
	v_dual_lshlrev_b32 v29, 3, v36 :: v_dual_fmac_f32 v3, v12, v6
	v_mul_f32_e32 v6, v7, v1
	s_delay_alu instid0(VALU_DEP_3) | instskip(NEXT) | instid1(VALU_DEP_3)
	v_dual_mul_f32 v12, v11, v13 :: v_dual_mul_f32 v16, v13, v40
	v_mul_f32_e32 v10, v1, v3
	s_delay_alu instid0(VALU_DEP_3) | instskip(SKIP_1) | instid1(VALU_DEP_4)
	v_pk_mul_f32 v[30:31], v[6:7], v[20:21] op_sel:[0,1] op_sel_hi:[0,0] neg_lo:[0,1]
	v_pk_mul_f32 v[32:33], v[6:7], v[22:23] op_sel:[0,1] op_sel_hi:[0,0] neg_lo:[0,1]
	;; [unrolled: 1-line block ×4, first 2 shown]
	v_pk_mul_f32 v[6:7], v[6:7], v[4:5] op_sel:[0,1] op_sel_hi:[0,0] neg_hi:[0,1]
	v_pk_fma_f32 v[20:21], v[20:21], v[10:11], v[30:31] op_sel_hi:[1,0,1]
	v_pk_fma_f32 v[22:23], v[22:23], v[10:11], v[32:33] op_sel_hi:[1,0,1]
	;; [unrolled: 1-line block ×3, first 2 shown]
	v_pk_mul_f32 v[12:13], v[12:13], v[24:25] op_sel:[0,1] op_sel_hi:[0,0] neg_hi:[0,1]
	v_pk_fma_f32 v[26:27], v[26:27], v[16:17], v[36:37] op_sel_hi:[1,0,1]
	v_pk_add_f32 v[14:15], v[14:15], v[20:21] neg_lo:[0,1] neg_hi:[0,1]
	v_pk_add_f32 v[18:19], v[18:19], v[22:23] neg_lo:[0,1] neg_hi:[0,1]
	v_pk_fma_f32 v[4:5], v[4:5], v[10:11], v[6:7] op_sel_hi:[1,0,1] neg_lo:[1,0,0] neg_hi:[1,0,0]
	v_pk_fma_f32 v[6:7], v[24:25], v[16:17], v[12:13] op_sel_hi:[1,0,1] neg_lo:[1,0,0] neg_hi:[1,0,0]
	v_min_u32_e32 v36, 55, v0
	v_pk_add_f32 v[8:9], v[14:15], v[8:9] neg_lo:[0,1] neg_hi:[0,1]
	v_pk_add_f32 v[10:11], v[18:19], v[26:27] neg_lo:[0,1] neg_hi:[0,1]
	ds_store_2addr_b64 v2, v[4:5], v[8:9] offset1:66
	ds_store_2addr_b64 v38, v[6:7], v[10:11] offset0:4 offset1:136
	s_wait_dscnt 0x0
	s_barrier_signal -1
	s_barrier_wait -1
	ds_load_2addr_b64 v[4:7], v41 offset1:66
	ds_load_2addr_b64 v[8:11], v29 offset0:4 offset1:70
	ds_load_2addr_b64 v[12:15], v2 offset1:66
	ds_load_2addr_b64 v[16:19], v38 offset0:4 offset1:136
	s_wait_dscnt 0x3
	v_mul_f32_e32 v1, v7, v7
	s_wait_dscnt 0x2
	s_delay_alu instid0(VALU_DEP_1) | instskip(NEXT) | instid1(VALU_DEP_1)
	v_dual_mul_f32 v3, v11, v11 :: v_dual_fmac_f32 v1, v6, v6
	v_fmac_f32_e32 v3, v10, v10
	s_delay_alu instid0(VALU_DEP_2) | instskip(NEXT) | instid1(VALU_DEP_2)
	v_div_scale_f32 v30, null, v1, v1, 1.0
	v_div_scale_f32 v31, null, v3, v3, 1.0
	s_delay_alu instid0(VALU_DEP_2) | instskip(NEXT) | instid1(VALU_DEP_1)
	v_rcp_f32_e32 v32, v30
	v_rcp_f32_e32 v33, v31
	s_delay_alu instid0(TRANS32_DEP_2) | instskip(NEXT) | instid1(TRANS32_DEP_1)
	v_fma_f32 v20, -v30, v32, 1.0
	v_fma_f32 v21, -v31, v33, 1.0
	s_delay_alu instid0(VALU_DEP_2) | instskip(SKIP_1) | instid1(VALU_DEP_3)
	v_fmac_f32_e32 v32, v20, v32
	v_div_scale_f32 v34, vcc_lo, 1.0, v1, 1.0
	v_fmac_f32_e32 v33, v21, v33
	v_div_scale_f32 v35, s0, 1.0, v3, 1.0
	s_delay_alu instid0(VALU_DEP_3) | instskip(SKIP_2) | instid1(VALU_DEP_4)
	v_mul_f32_e32 v37, v34, v32
	v_sub_nc_u32_e64 v20, v0, 8 clamp
	v_add_nc_u32_e32 v21, 0x400, v41
	v_mul_f32_e32 v39, v35, v33
	v_add_nc_u32_e32 v24, 0x400, v29
	s_delay_alu instid0(VALU_DEP_4) | instskip(NEXT) | instid1(VALU_DEP_1)
	v_dual_fma_f32 v29, -v30, v37, v34 :: v_dual_lshlrev_b32 v40, 3, v20
	v_dual_fmac_f32 v37, v29, v32 :: v_dual_fma_f32 v41, -v31, v39, v35
	s_wait_dscnt 0x1
	v_dual_mul_f32 v29, v7, v13 :: v_dual_mul_f32 v7, v7, -v12
	s_delay_alu instid0(VALU_DEP_2) | instskip(NEXT) | instid1(VALU_DEP_3)
	v_fma_f32 v30, -v30, v37, v34
	v_fmac_f32_e32 v39, v41, v33
	s_wait_dscnt 0x0
	s_delay_alu instid0(VALU_DEP_3) | instskip(SKIP_4) | instid1(VALU_DEP_3)
	v_dual_mul_f32 v41, v11, v17 :: v_dual_fmac_f32 v7, v13, v6
	v_mul_f32_e64 v11, v11, -v16
	v_div_fmas_f32 v30, v30, v32, v37
	v_dual_fma_f32 v31, -v31, v39, v35 :: v_dual_fmac_f32 v29, v12, v6
	s_mov_b32 vcc_lo, s0
	v_dual_fmac_f32 v11, v17, v10 :: v_dual_fmac_f32 v41, v16, v10
	s_delay_alu instid0(VALU_DEP_2) | instskip(SKIP_2) | instid1(VALU_DEP_3)
	v_div_fmas_f32 v31, v31, v33, v39
	v_div_fixup_f32 v1, v30, v1, 1.0
	v_lshlrev_b32_e32 v39, 3, v36
	v_div_fixup_f32 v3, v31, v3, 1.0
	s_delay_alu instid0(VALU_DEP_3) | instskip(NEXT) | instid1(VALU_DEP_2)
	v_mul_f32_e32 v6, v7, v1
	v_dual_mul_f32 v10, v1, v29 :: v_dual_mul_f32 v12, v11, v3
	ds_load_2addr_b64 v[20:23], v21 offset0:4 offset1:136
	ds_load_2addr_b64 v[24:27], v24 offset0:8 offset1:140
	v_mul_f32_e32 v16, v3, v41
	s_wait_dscnt 0x0
	s_barrier_signal -1
	v_pk_mul_f32 v[34:35], v[12:13], v[8:9] op_sel:[0,1] op_sel_hi:[0,0] neg_lo:[0,1]
	s_barrier_wait -1
	s_delay_alu instid0(VALU_DEP_1)
	v_pk_fma_f32 v[8:9], v[8:9], v[16:17], v[34:35] op_sel_hi:[1,0,1]
	v_min_u32_e32 v35, 47, v0
	v_pk_mul_f32 v[30:31], v[6:7], v[20:21] op_sel:[0,1] op_sel_hi:[0,0] neg_lo:[0,1]
	v_pk_mul_f32 v[32:33], v[6:7], v[22:23] op_sel:[0,1] op_sel_hi:[0,0] neg_lo:[0,1]
	;; [unrolled: 1-line block ×3, first 2 shown]
	v_pk_mul_f32 v[6:7], v[6:7], v[4:5] op_sel:[0,1] op_sel_hi:[0,0] neg_hi:[0,1]
	v_pk_mul_f32 v[12:13], v[12:13], v[24:25] op_sel:[0,1] op_sel_hi:[0,0] neg_hi:[0,1]
	v_pk_fma_f32 v[20:21], v[20:21], v[10:11], v[30:31] op_sel_hi:[1,0,1]
	v_pk_fma_f32 v[22:23], v[22:23], v[10:11], v[32:33] op_sel_hi:[1,0,1]
	;; [unrolled: 1-line block ×3, first 2 shown]
	v_pk_fma_f32 v[4:5], v[4:5], v[10:11], v[6:7] op_sel_hi:[1,0,1] neg_lo:[1,0,0] neg_hi:[1,0,0]
	v_pk_fma_f32 v[6:7], v[24:25], v[16:17], v[12:13] op_sel_hi:[1,0,1] neg_lo:[1,0,0] neg_hi:[1,0,0]
	v_pk_add_f32 v[14:15], v[14:15], v[20:21] neg_lo:[0,1] neg_hi:[0,1]
	v_pk_add_f32 v[18:19], v[18:19], v[22:23] neg_lo:[0,1] neg_hi:[0,1]
	s_delay_alu instid0(VALU_DEP_2) | instskip(NEXT) | instid1(VALU_DEP_2)
	v_pk_add_f32 v[8:9], v[14:15], v[8:9] neg_lo:[0,1] neg_hi:[0,1]
	v_pk_add_f32 v[10:11], v[18:19], v[26:27] neg_lo:[0,1] neg_hi:[0,1]
	ds_store_2addr_b64 v2, v[4:5], v[8:9] offset1:66
	ds_store_2addr_b64 v38, v[6:7], v[10:11] offset0:4 offset1:136
	s_wait_dscnt 0x0
	s_barrier_signal -1
	s_barrier_wait -1
	ds_load_2addr_b64 v[4:7], v40 offset1:66
	ds_load_2addr_b64 v[8:11], v39 offset0:8 offset1:74
	ds_load_2addr_b64 v[12:15], v2 offset1:66
	ds_load_2addr_b64 v[16:19], v38 offset0:4 offset1:136
	v_add_nc_u32_e32 v24, 0x400, v39
	s_wait_dscnt 0x3
	v_mul_f32_e32 v1, v7, v7
	s_wait_dscnt 0x2
	s_delay_alu instid0(VALU_DEP_1) | instskip(NEXT) | instid1(VALU_DEP_1)
	v_dual_mul_f32 v3, v11, v11 :: v_dual_fmac_f32 v1, v6, v6
	v_div_scale_f32 v29, null, v1, v1, 1.0
	v_div_scale_f32 v33, vcc_lo, 1.0, v1, 1.0
	s_delay_alu instid0(VALU_DEP_2) | instskip(SKIP_1) | instid1(TRANS32_DEP_1)
	v_rcp_f32_e32 v31, v29
	v_nop
	v_fma_f32 v20, -v29, v31, 1.0
	s_delay_alu instid0(VALU_DEP_1) | instskip(SKIP_2) | instid1(VALU_DEP_3)
	v_fmac_f32_e32 v31, v20, v31
	v_fmac_f32_e32 v3, v10, v10
	v_sub_nc_u32_e64 v20, v0, 16 clamp
	v_mul_f32_e32 v36, v33, v31
	s_delay_alu instid0(VALU_DEP_3) | instskip(SKIP_1) | instid1(VALU_DEP_2)
	v_div_scale_f32 v30, null, v3, v3, 1.0
	v_div_scale_f32 v34, s0, 1.0, v3, 1.0
	v_rcp_f32_e32 v32, v30
	v_nop
	s_delay_alu instid0(TRANS32_DEP_1) | instskip(NEXT) | instid1(VALU_DEP_1)
	v_fma_f32 v21, -v30, v32, 1.0
	v_fmac_f32_e32 v32, v21, v32
	s_delay_alu instid0(VALU_DEP_1) | instskip(NEXT) | instid1(VALU_DEP_1)
	v_mul_f32_e32 v37, v34, v32
	v_dual_fma_f32 v39, -v29, v36, v33 :: v_dual_fma_f32 v41, -v30, v37, v34
	s_delay_alu instid0(VALU_DEP_1)
	v_dual_fmac_f32 v36, v39, v31 :: v_dual_add_nc_u32 v21, 0x400, v40
	s_wait_dscnt 0x1
	v_dual_mul_f32 v39, v7, v13 :: v_dual_lshlrev_b32 v40, 3, v20
	s_wait_dscnt 0x0
	v_dual_fmac_f32 v37, v41, v32 :: v_dual_mul_f32 v41, v11, v17
	ds_load_2addr_b64 v[20:23], v21 offset0:4 offset1:136
	ds_load_2addr_b64 v[24:27], v24 offset0:12 offset1:144
	v_dual_fmac_f32 v39, v12, v6 :: v_dual_mul_f32 v7, v7, -v12
	v_dual_fma_f32 v30, -v30, v37, v34 :: v_dual_mul_f32 v11, v11, -v16
	v_fmac_f32_e32 v41, v16, v10
	s_wait_dscnt 0x0
	s_delay_alu instid0(VALU_DEP_3) | instskip(SKIP_4) | instid1(VALU_DEP_2)
	v_fmac_f32_e32 v7, v13, v6
	v_fma_f32 v29, -v29, v36, v33
	v_fmac_f32_e32 v11, v17, v10
	s_barrier_signal -1
	s_barrier_wait -1
	v_div_fmas_f32 v29, v29, v31, v36
	s_mov_b32 vcc_lo, s0
	v_div_fmas_f32 v30, v30, v32, v37
	s_delay_alu instid0(VALU_DEP_2) | instskip(NEXT) | instid1(VALU_DEP_2)
	v_div_fixup_f32 v1, v29, v1, 1.0
	v_div_fixup_f32 v3, v30, v3, 1.0
	s_delay_alu instid0(VALU_DEP_2) | instskip(SKIP_1) | instid1(VALU_DEP_3)
	v_dual_mul_f32 v6, v7, v1 :: v_dual_lshlrev_b32 v29, 3, v35
	v_mul_f32_e32 v10, v1, v39
	v_mul_f32_e32 v12, v11, v3
	;; [unrolled: 1-line block ×3, first 2 shown]
	s_delay_alu instid0(VALU_DEP_4)
	v_pk_mul_f32 v[30:31], v[6:7], v[20:21] op_sel:[0,1] op_sel_hi:[0,0] neg_lo:[0,1]
	v_pk_mul_f32 v[32:33], v[6:7], v[22:23] op_sel:[0,1] op_sel_hi:[0,0] neg_lo:[0,1]
	v_pk_mul_f32 v[6:7], v[6:7], v[4:5] op_sel:[0,1] op_sel_hi:[0,0] neg_hi:[0,1]
	v_pk_mul_f32 v[34:35], v[12:13], v[8:9] op_sel:[0,1] op_sel_hi:[0,0] neg_lo:[0,1]
	v_pk_mul_f32 v[36:37], v[12:13], v[26:27] op_sel:[0,1] op_sel_hi:[0,0] neg_lo:[0,1]
	v_pk_fma_f32 v[20:21], v[20:21], v[10:11], v[30:31] op_sel_hi:[1,0,1]
	v_pk_fma_f32 v[22:23], v[22:23], v[10:11], v[32:33] op_sel_hi:[1,0,1]
	v_pk_mul_f32 v[12:13], v[12:13], v[24:25] op_sel:[0,1] op_sel_hi:[0,0] neg_hi:[0,1]
	v_pk_fma_f32 v[8:9], v[8:9], v[16:17], v[34:35] op_sel_hi:[1,0,1]
	v_pk_fma_f32 v[26:27], v[26:27], v[16:17], v[36:37] op_sel_hi:[1,0,1]
	v_pk_add_f32 v[14:15], v[14:15], v[20:21] neg_lo:[0,1] neg_hi:[0,1]
	v_pk_add_f32 v[18:19], v[18:19], v[22:23] neg_lo:[0,1] neg_hi:[0,1]
	v_pk_fma_f32 v[4:5], v[4:5], v[10:11], v[6:7] op_sel_hi:[1,0,1] neg_lo:[1,0,0] neg_hi:[1,0,0]
	v_pk_fma_f32 v[6:7], v[24:25], v[16:17], v[12:13] op_sel_hi:[1,0,1] neg_lo:[1,0,0] neg_hi:[1,0,0]
	s_delay_alu instid0(VALU_DEP_4) | instskip(NEXT) | instid1(VALU_DEP_4)
	v_pk_add_f32 v[8:9], v[14:15], v[8:9] neg_lo:[0,1] neg_hi:[0,1]
	v_pk_add_f32 v[10:11], v[18:19], v[26:27] neg_lo:[0,1] neg_hi:[0,1]
	ds_store_2addr_b64 v2, v[4:5], v[8:9] offset1:66
	ds_store_2addr_b64 v38, v[6:7], v[10:11] offset0:4 offset1:136
	s_wait_dscnt 0x0
	s_barrier_signal -1
	s_barrier_wait -1
	ds_load_2addr_b64 v[4:7], v40 offset1:66
	ds_load_2addr_b64 v[8:11], v29 offset0:16 offset1:82
	ds_load_2addr_b64 v[12:15], v2 offset1:66
	ds_load_2addr_b64 v[16:19], v38 offset0:4 offset1:136
	s_wait_dscnt 0x3
	v_mul_f32_e32 v1, v7, v7
	s_wait_dscnt 0x2
	s_delay_alu instid0(VALU_DEP_1) | instskip(NEXT) | instid1(VALU_DEP_1)
	v_dual_mul_f32 v3, v11, v11 :: v_dual_fmac_f32 v1, v6, v6
	v_fmac_f32_e32 v3, v10, v10
	s_delay_alu instid0(VALU_DEP_2) | instskip(NEXT) | instid1(VALU_DEP_2)
	v_div_scale_f32 v30, null, v1, v1, 1.0
	v_div_scale_f32 v31, null, v3, v3, 1.0
	v_div_scale_f32 v34, vcc_lo, 1.0, v1, 1.0
	s_delay_alu instid0(VALU_DEP_3) | instskip(NEXT) | instid1(VALU_DEP_2)
	v_rcp_f32_e32 v32, v30
	v_rcp_f32_e32 v33, v31
	v_div_scale_f32 v35, s0, 1.0, v3, 1.0
	s_delay_alu instid0(TRANS32_DEP_2) | instskip(NEXT) | instid1(TRANS32_DEP_1)
	v_fma_f32 v20, -v30, v32, 1.0
	v_fma_f32 v21, -v31, v33, 1.0
	s_delay_alu instid0(VALU_DEP_1) | instskip(SKIP_1) | instid1(VALU_DEP_2)
	v_dual_fmac_f32 v32, v20, v32 :: v_dual_fmac_f32 v33, v21, v33
	v_add_nc_u32_e32 v20, 0x400, v40
	v_dual_mul_f32 v36, v34, v32 :: v_dual_mul_f32 v0, v35, v33
	s_delay_alu instid0(VALU_DEP_1) | instskip(NEXT) | instid1(VALU_DEP_1)
	v_fma_f32 v39, -v31, v0, v35
	v_dual_fma_f32 v37, -v30, v36, v34 :: v_dual_fmac_f32 v0, v39, v33
	s_wait_dscnt 0x1
	s_delay_alu instid0(VALU_DEP_1)
	v_dual_fmac_f32 v36, v37, v32 :: v_dual_mul_f32 v37, v7, v13
	v_mul_f32_e64 v7, v7, -v12
	v_add_nc_u32_e32 v24, 0x400, v29
	s_wait_dscnt 0x0
	v_dual_ashrrev_i32 v29, 31, v28 :: v_dual_mul_f32 v39, v11, v17
	v_dual_fmac_f32 v37, v12, v6 :: v_dual_mul_f32 v11, v11, -v16
	v_fma_f32 v30, -v30, v36, v34
	v_fma_f32 v31, -v31, v0, v35
	s_delay_alu instid0(VALU_DEP_4) | instskip(NEXT) | instid1(VALU_DEP_4)
	v_fmac_f32_e32 v39, v16, v10
	v_fmac_f32_e32 v11, v17, v10
	;; [unrolled: 1-line block ×3, first 2 shown]
	ds_load_2addr_b64 v[20:23], v20 offset0:4 offset1:136
	ds_load_2addr_b64 v[24:27], v24 offset0:20 offset1:152
	v_div_fmas_f32 v30, v30, v32, v36
	s_mov_b32 vcc_lo, s0
	s_wait_dscnt 0x0
	v_div_fmas_f32 v0, v31, v33, v0
	s_barrier_signal -1
	v_div_fixup_f32 v13, v30, v1, 1.0
	s_barrier_wait -1
	s_delay_alu instid0(VALU_DEP_2) | instskip(SKIP_1) | instid1(VALU_DEP_3)
	v_div_fixup_f32 v3, v0, v3, 1.0
	v_lshl_add_u64 v[0:1], v[28:29], 3, s[10:11]
	v_mul_f32_e32 v6, v7, v13
	s_delay_alu instid0(VALU_DEP_3) | instskip(SKIP_1) | instid1(VALU_DEP_3)
	v_dual_mul_f32 v10, v13, v37 :: v_dual_mul_f32 v12, v11, v3
	v_mul_f32_e32 v16, v3, v39
	v_pk_mul_f32 v[28:29], v[6:7], v[20:21] op_sel:[0,1] op_sel_hi:[0,0] neg_lo:[0,1]
	v_pk_mul_f32 v[30:31], v[6:7], v[22:23] op_sel:[0,1] op_sel_hi:[0,0] neg_lo:[0,1]
	s_delay_alu instid0(VALU_DEP_4)
	v_pk_mul_f32 v[32:33], v[12:13], v[8:9] op_sel:[0,1] op_sel_hi:[0,0] neg_lo:[0,1]
	v_pk_mul_f32 v[34:35], v[12:13], v[26:27] op_sel:[0,1] op_sel_hi:[0,0] neg_lo:[0,1]
	v_pk_mul_f32 v[6:7], v[6:7], v[4:5] op_sel:[0,1] op_sel_hi:[0,0] neg_hi:[0,1]
	v_pk_fma_f32 v[20:21], v[20:21], v[10:11], v[28:29] op_sel_hi:[1,0,1]
	v_pk_fma_f32 v[22:23], v[22:23], v[10:11], v[30:31] op_sel_hi:[1,0,1]
	;; [unrolled: 1-line block ×3, first 2 shown]
	v_pk_mul_f32 v[12:13], v[12:13], v[24:25] op_sel:[0,1] op_sel_hi:[0,0] neg_hi:[0,1]
	v_pk_fma_f32 v[26:27], v[26:27], v[16:17], v[34:35] op_sel_hi:[1,0,1]
	v_pk_add_f32 v[14:15], v[14:15], v[20:21] neg_lo:[0,1] neg_hi:[0,1]
	v_pk_add_f32 v[18:19], v[18:19], v[22:23] neg_lo:[0,1] neg_hi:[0,1]
	v_pk_fma_f32 v[4:5], v[4:5], v[10:11], v[6:7] op_sel_hi:[1,0,1] neg_lo:[1,0,0] neg_hi:[1,0,0]
	v_pk_fma_f32 v[6:7], v[24:25], v[16:17], v[12:13] op_sel_hi:[1,0,1] neg_lo:[1,0,0] neg_hi:[1,0,0]
	s_delay_alu instid0(VALU_DEP_4) | instskip(NEXT) | instid1(VALU_DEP_4)
	v_pk_add_f32 v[8:9], v[14:15], v[8:9] neg_lo:[0,1] neg_hi:[0,1]
	v_pk_add_f32 v[10:11], v[18:19], v[26:27] neg_lo:[0,1] neg_hi:[0,1]
	ds_store_2addr_b64 v2, v[4:5], v[8:9] offset1:66
	ds_store_2addr_b64 v38, v[6:7], v[10:11] offset0:4 offset1:136
	s_wait_dscnt 0x0
	s_barrier_signal -1
	s_barrier_wait -1
	s_and_saveexec_b32 s0, s1
	s_cbranch_execz .LBB47_2
; %bb.1:
	v_add_nc_u32_e32 v3, 0x210, v2
	v_add_nc_u32_e32 v8, 0x420, v2
	;; [unrolled: 1-line block ×3, first 2 shown]
	ds_load_2addr_b64 v[4:7], v3 offset1:32
	ds_load_b64 v[8:9], v8
	ds_load_b32 v10, v11
	ds_load_b64 v[12:13], v11
	ds_load_b64 v[14:15], v2 offset:256
	s_wait_dscnt 0x4
	v_pk_mul_f32 v[16:17], v[4:5], v[6:7] op_sel:[1,1] op_sel_hi:[1,0] neg_lo:[0,1]
	s_wait_dscnt 0x0
	v_pk_mul_f32 v[18:19], v[14:15], v[8:9] op_sel:[1,1] op_sel_hi:[1,0] neg_lo:[0,1]
	s_delay_alu instid0(VALU_DEP_2) | instskip(SKIP_1) | instid1(VALU_DEP_3)
	v_pk_fma_f32 v[16:17], v[6:7], v[4:5], v[16:17] op_sel_hi:[1,0,1]
	v_pk_mul_f32 v[28:29], v[14:15], v[12:13] op_sel:[1,1] op_sel_hi:[1,0] neg_lo:[0,1]
	v_pk_fma_f32 v[18:19], v[8:9], v[14:15], v[18:19] op_sel_hi:[1,0,1]
	s_delay_alu instid0(VALU_DEP_1) | instskip(SKIP_4) | instid1(VALU_DEP_1)
	v_pk_add_f32 v[16:17], v[16:17], v[18:19] neg_lo:[0,1] neg_hi:[0,1]
	ds_load_2addr_b32 v[18:19], v11 offset0:1 offset1:64
	ds_load_b32 v20, v11 offset:260
	ds_load_b64 v[22:23], v11 offset:256
	v_mul_f32_e32 v3, v17, v17
	v_fmac_f32_e32 v3, v16, v16
	s_delay_alu instid0(VALU_DEP_1) | instskip(SKIP_2) | instid1(VALU_DEP_2)
	v_div_scale_f32 v26, null, v3, v3, 1.0
	s_wait_dscnt 0x2
	v_pk_mul_f32 v[24:25], v[18:19], v[6:7] op_sel:[0,1] op_sel_hi:[0,0] neg_lo:[0,1]
	v_rcp_f32_e32 v30, v26
	v_mov_b32_e32 v18, v19
	s_delay_alu instid0(TRANS32_DEP_1) | instskip(NEXT) | instid1(VALU_DEP_1)
	v_fma_f32 v21, -v26, v30, 1.0
	v_fmac_f32_e32 v30, v21, v30
	v_div_scale_f32 v27, vcc_lo, 1.0, v3, 1.0
	s_delay_alu instid0(VALU_DEP_1) | instskip(NEXT) | instid1(VALU_DEP_1)
	v_mul_f32_e32 v11, v27, v30
	v_fma_f32 v21, -v26, v11, v27
	s_delay_alu instid0(VALU_DEP_1) | instskip(NEXT) | instid1(VALU_DEP_1)
	v_fmac_f32_e32 v11, v21, v30
	v_fma_f32 v19, -v26, v11, v27
	s_wait_dscnt 0x1
	v_pk_mul_f32 v[20:21], v[20:21], v[8:9] op_sel:[0,1] op_sel_hi:[0,0] neg_lo:[0,1]
	s_wait_dscnt 0x0
	v_pk_mul_f32 v[26:27], v[4:5], v[22:23] op_sel:[1,1] op_sel_hi:[1,0] neg_lo:[0,1]
	v_div_fmas_f32 v11, v19, v30, v11
	s_delay_alu instid0(VALU_DEP_3) | instskip(NEXT) | instid1(VALU_DEP_3)
	v_pk_fma_f32 v[8:9], v[8:9], v[18:19], v[20:21] op_sel_hi:[1,0,1]
	v_pk_fma_f32 v[4:5], v[22:23], v[4:5], v[26:27] op_sel_hi:[1,0,1]
	v_fma_f32 v18, v16, 0, -v17
	s_delay_alu instid0(VALU_DEP_4) | instskip(SKIP_2) | instid1(VALU_DEP_3)
	v_pk_fma_f32 v[6:7], v[6:7], v[10:11], v[24:25] op_sel_hi:[1,0,1]
	v_div_fixup_f32 v3, v11, v3, 1.0
	v_pk_fma_f32 v[10:11], v[12:13], v[14:15], v[28:29] op_sel_hi:[1,0,1]
	v_pk_add_f32 v[6:7], v[6:7], v[8:9] neg_lo:[0,1] neg_hi:[0,1]
	s_delay_alu instid0(VALU_DEP_3) | instskip(NEXT) | instid1(VALU_DEP_3)
	v_dual_fma_f32 v9, 0, v17, v16 :: v_dual_mul_f32 v8, v18, v3
	v_pk_add_f32 v[4:5], v[4:5], v[10:11] neg_lo:[0,1] neg_hi:[0,1]
	s_delay_alu instid0(VALU_DEP_2) | instskip(NEXT) | instid1(VALU_DEP_3)
	v_mul_f32_e32 v10, v9, v3
	v_pk_mul_f32 v[12:13], v[8:9], v[6:7] op_sel:[0,1] op_sel_hi:[0,0] neg_lo:[0,1]
	s_delay_alu instid0(VALU_DEP_3) | instskip(NEXT) | instid1(VALU_DEP_2)
	v_pk_mul_f32 v[8:9], v[8:9], v[4:5] op_sel:[0,1] op_sel_hi:[0,0] neg_lo:[0,1]
	v_pk_fma_f32 v[6:7], v[6:7], v[10:11], v[12:13] op_sel_hi:[1,0,1]
	s_delay_alu instid0(VALU_DEP_2)
	v_pk_fma_f32 v[4:5], v[4:5], v[10:11], v[8:9] op_sel_hi:[1,0,1]
	ds_store_2addr_b64 v2, v[6:7], v[4:5] offset0:198 offset1:230
.LBB47_2:
	s_or_b32 exec_lo, exec_lo, s0
	s_wait_dscnt 0x0
	s_barrier_signal -1
	s_barrier_wait -1
	ds_load_b64 v[2:3], v2 offset:1584
	s_wait_dscnt 0x0
	global_store_b64 v[0:1], v[2:3], off
	s_endpgm
	.section	.rodata,"a",@progbits
	.p2align	6, 0x0
	.amdhsa_kernel _ZN9rocsparseL49gtsv_nopivot_strided_batch_pcr_pow2_shared_kernelILj64E21rocsparse_complex_numIfEEEviiiPKT0_S5_S5_PS3_
		.amdhsa_group_segment_fixed_size 2632
		.amdhsa_private_segment_fixed_size 0
		.amdhsa_kernarg_size 48
		.amdhsa_user_sgpr_count 2
		.amdhsa_user_sgpr_dispatch_ptr 0
		.amdhsa_user_sgpr_queue_ptr 0
		.amdhsa_user_sgpr_kernarg_segment_ptr 1
		.amdhsa_user_sgpr_dispatch_id 0
		.amdhsa_user_sgpr_kernarg_preload_length 0
		.amdhsa_user_sgpr_kernarg_preload_offset 0
		.amdhsa_user_sgpr_private_segment_size 0
		.amdhsa_wavefront_size32 1
		.amdhsa_uses_dynamic_stack 0
		.amdhsa_enable_private_segment 0
		.amdhsa_system_sgpr_workgroup_id_x 1
		.amdhsa_system_sgpr_workgroup_id_y 0
		.amdhsa_system_sgpr_workgroup_id_z 0
		.amdhsa_system_sgpr_workgroup_info 0
		.amdhsa_system_vgpr_workitem_id 0
		.amdhsa_next_free_vgpr 44
		.amdhsa_next_free_sgpr 12
		.amdhsa_named_barrier_count 0
		.amdhsa_reserve_vcc 1
		.amdhsa_float_round_mode_32 0
		.amdhsa_float_round_mode_16_64 0
		.amdhsa_float_denorm_mode_32 3
		.amdhsa_float_denorm_mode_16_64 3
		.amdhsa_fp16_overflow 0
		.amdhsa_memory_ordered 1
		.amdhsa_forward_progress 1
		.amdhsa_inst_pref_size 27
		.amdhsa_round_robin_scheduling 0
		.amdhsa_exception_fp_ieee_invalid_op 0
		.amdhsa_exception_fp_denorm_src 0
		.amdhsa_exception_fp_ieee_div_zero 0
		.amdhsa_exception_fp_ieee_overflow 0
		.amdhsa_exception_fp_ieee_underflow 0
		.amdhsa_exception_fp_ieee_inexact 0
		.amdhsa_exception_int_div_zero 0
	.end_amdhsa_kernel
	.section	.text._ZN9rocsparseL49gtsv_nopivot_strided_batch_pcr_pow2_shared_kernelILj64E21rocsparse_complex_numIfEEEviiiPKT0_S5_S5_PS3_,"axG",@progbits,_ZN9rocsparseL49gtsv_nopivot_strided_batch_pcr_pow2_shared_kernelILj64E21rocsparse_complex_numIfEEEviiiPKT0_S5_S5_PS3_,comdat
.Lfunc_end47:
	.size	_ZN9rocsparseL49gtsv_nopivot_strided_batch_pcr_pow2_shared_kernelILj64E21rocsparse_complex_numIfEEEviiiPKT0_S5_S5_PS3_, .Lfunc_end47-_ZN9rocsparseL49gtsv_nopivot_strided_batch_pcr_pow2_shared_kernelILj64E21rocsparse_complex_numIfEEEviiiPKT0_S5_S5_PS3_
                                        ; -- End function
	.set _ZN9rocsparseL49gtsv_nopivot_strided_batch_pcr_pow2_shared_kernelILj64E21rocsparse_complex_numIfEEEviiiPKT0_S5_S5_PS3_.num_vgpr, 44
	.set _ZN9rocsparseL49gtsv_nopivot_strided_batch_pcr_pow2_shared_kernelILj64E21rocsparse_complex_numIfEEEviiiPKT0_S5_S5_PS3_.num_agpr, 0
	.set _ZN9rocsparseL49gtsv_nopivot_strided_batch_pcr_pow2_shared_kernelILj64E21rocsparse_complex_numIfEEEviiiPKT0_S5_S5_PS3_.numbered_sgpr, 12
	.set _ZN9rocsparseL49gtsv_nopivot_strided_batch_pcr_pow2_shared_kernelILj64E21rocsparse_complex_numIfEEEviiiPKT0_S5_S5_PS3_.num_named_barrier, 0
	.set _ZN9rocsparseL49gtsv_nopivot_strided_batch_pcr_pow2_shared_kernelILj64E21rocsparse_complex_numIfEEEviiiPKT0_S5_S5_PS3_.private_seg_size, 0
	.set _ZN9rocsparseL49gtsv_nopivot_strided_batch_pcr_pow2_shared_kernelILj64E21rocsparse_complex_numIfEEEviiiPKT0_S5_S5_PS3_.uses_vcc, 1
	.set _ZN9rocsparseL49gtsv_nopivot_strided_batch_pcr_pow2_shared_kernelILj64E21rocsparse_complex_numIfEEEviiiPKT0_S5_S5_PS3_.uses_flat_scratch, 0
	.set _ZN9rocsparseL49gtsv_nopivot_strided_batch_pcr_pow2_shared_kernelILj64E21rocsparse_complex_numIfEEEviiiPKT0_S5_S5_PS3_.has_dyn_sized_stack, 0
	.set _ZN9rocsparseL49gtsv_nopivot_strided_batch_pcr_pow2_shared_kernelILj64E21rocsparse_complex_numIfEEEviiiPKT0_S5_S5_PS3_.has_recursion, 0
	.set _ZN9rocsparseL49gtsv_nopivot_strided_batch_pcr_pow2_shared_kernelILj64E21rocsparse_complex_numIfEEEviiiPKT0_S5_S5_PS3_.has_indirect_call, 0
	.section	.AMDGPU.csdata,"",@progbits
; Kernel info:
; codeLenInByte = 3404
; TotalNumSgprs: 14
; NumVgprs: 44
; ScratchSize: 0
; MemoryBound: 0
; FloatMode: 240
; IeeeMode: 1
; LDSByteSize: 2632 bytes/workgroup (compile time only)
; SGPRBlocks: 0
; VGPRBlocks: 2
; NumSGPRsForWavesPerEU: 14
; NumVGPRsForWavesPerEU: 44
; NamedBarCnt: 0
; Occupancy: 16
; WaveLimiterHint : 0
; COMPUTE_PGM_RSRC2:SCRATCH_EN: 0
; COMPUTE_PGM_RSRC2:USER_SGPR: 2
; COMPUTE_PGM_RSRC2:TRAP_HANDLER: 0
; COMPUTE_PGM_RSRC2:TGID_X_EN: 1
; COMPUTE_PGM_RSRC2:TGID_Y_EN: 0
; COMPUTE_PGM_RSRC2:TGID_Z_EN: 0
; COMPUTE_PGM_RSRC2:TIDIG_COMP_CNT: 0
	.section	.text._ZN9rocsparseL51gtsv_nopivot_strided_batch_crpcr_pow2_shared_kernelILj64ELj64E21rocsparse_complex_numIfEEEviiiPKT1_S5_S5_PS3_,"axG",@progbits,_ZN9rocsparseL51gtsv_nopivot_strided_batch_crpcr_pow2_shared_kernelILj64ELj64E21rocsparse_complex_numIfEEEviiiPKT1_S5_S5_PS3_,comdat
	.globl	_ZN9rocsparseL51gtsv_nopivot_strided_batch_crpcr_pow2_shared_kernelILj64ELj64E21rocsparse_complex_numIfEEEviiiPKT1_S5_S5_PS3_ ; -- Begin function _ZN9rocsparseL51gtsv_nopivot_strided_batch_crpcr_pow2_shared_kernelILj64ELj64E21rocsparse_complex_numIfEEEviiiPKT1_S5_S5_PS3_
	.p2align	8
	.type	_ZN9rocsparseL51gtsv_nopivot_strided_batch_crpcr_pow2_shared_kernelILj64ELj64E21rocsparse_complex_numIfEEEviiiPKT1_S5_S5_PS3_,@function
_ZN9rocsparseL51gtsv_nopivot_strided_batch_crpcr_pow2_shared_kernelILj64ELj64E21rocsparse_complex_numIfEEEviiiPKT1_S5_S5_PS3_: ; @_ZN9rocsparseL51gtsv_nopivot_strided_batch_crpcr_pow2_shared_kernelILj64ELj64E21rocsparse_complex_numIfEEEviiiPKT1_S5_S5_PS3_
; %bb.0:
	s_load_b32 s2, s[0:1], 0x8
	s_bfe_u32 s3, ttmp6, 0x4000c
	s_load_b256 s[4:11], s[0:1], 0x10
	s_add_co_i32 s3, s3, 1
	s_and_b32 s12, ttmp6, 15
	s_wait_xcnt 0x0
	s_mul_i32 s0, ttmp9, s3
	s_getreg_b32 s1, hwreg(HW_REG_IB_STS2, 6, 4)
	s_add_co_i32 s12, s12, s0
	s_cmp_eq_u32 s1, 0
	s_mov_b32 s1, exec_lo
	s_cselect_b32 s0, ttmp9, s12
	v_lshlrev_b32_e32 v6, 3, v0
	s_wait_kmcnt 0x0
	v_mad_u32 v2, s2, s0, v0
	v_cmp_gt_u32_e64 s0, 64, v0
	s_delay_alu instid0(VALU_DEP_2)
	v_add_nc_u32_e32 v4, 64, v2
	s_clause 0x3
	global_load_b64 v[8:9], v2, s[4:5] scale_offset
	global_load_b64 v[10:11], v2, s[6:7] scale_offset
	;; [unrolled: 1-line block ×4, first 2 shown]
	s_clause 0x3
	global_load_b64 v[16:17], v4, s[4:5] scale_offset
	global_load_b64 v[18:19], v4, s[6:7] scale_offset
	;; [unrolled: 1-line block ×4, first 2 shown]
	s_wait_loadcnt 0x3
	ds_store_2addr_stride64_b64 v6, v[8:9], v[16:17] offset1:1
	s_wait_loadcnt 0x2
	ds_store_2addr_stride64_b64 v6, v[10:11], v[18:19] offset0:2 offset1:3
	s_wait_loadcnt 0x1
	ds_store_2addr_stride64_b64 v6, v[12:13], v[20:21] offset0:4 offset1:5
	;; [unrolled: 2-line block ×3, first 2 shown]
	s_wait_dscnt 0x0
	s_barrier_signal -1
	s_barrier_wait -1
	v_cmpx_lt_u32_e32 63, v0
	s_xor_b32 s1, exec_lo, s1
	s_delay_alu instid0(SALU_CYCLE_1)
	s_or_saveexec_b32 s2, s1
	v_or_b32_e32 v8, 0x400, v6
	v_or_b32_e32 v5, 0x800, v6
	;; [unrolled: 1-line block ×3, first 2 shown]
	v_lshlrev_b32_e32 v1, 1, v0
	s_xor_b32 exec_lo, exec_lo, s2
	s_cbranch_execz .LBB48_2
; %bb.1:
	s_delay_alu instid0(VALU_DEP_1) | instskip(SKIP_2) | instid1(VALU_DEP_3)
	v_min_u32_e32 v9, 0x7d, v1
	v_dual_add_nc_u32 v7, v8, v6 :: v_dual_add_nc_u32 v40, v6, v6
	v_dual_add_nc_u32 v42, v5, v6 :: v_dual_add_nc_u32 v46, v3, v6
	v_lshlrev_b32_e32 v9, 3, v9
	ds_load_b128 v[10:13], v7
	ds_load_2addr_b64 v[14:17], v9 offset0:2 offset1:130
	s_wait_dscnt 0x1
	v_dual_mul_f32 v34, v11, v11 :: v_dual_add_nc_u32 v9, 16, v9
	s_wait_dscnt 0x0
	s_delay_alu instid0(VALU_DEP_1) | instskip(NEXT) | instid1(VALU_DEP_1)
	v_dual_mul_f32 v35, v17, v17 :: v_dual_fmac_f32 v34, v10, v10
	v_fmac_f32_e32 v35, v16, v16
	s_delay_alu instid0(VALU_DEP_2) | instskip(SKIP_1) | instid1(VALU_DEP_3)
	v_div_scale_f32 v36, null, v34, v34, 1.0
	v_div_scale_f32 v41, vcc_lo, 1.0, v34, 1.0
	v_div_scale_f32 v38, null, v35, v35, 1.0
	s_delay_alu instid0(VALU_DEP_3) | instskip(SKIP_1) | instid1(VALU_DEP_2)
	v_rcp_f32_e32 v37, v36
	v_div_scale_f32 v44, s1, 1.0, v35, 1.0
	v_rcp_f32_e32 v39, v38
	s_delay_alu instid0(TRANS32_DEP_2) | instskip(NEXT) | instid1(TRANS32_DEP_1)
	v_fma_f32 v18, -v36, v37, 1.0
	v_fma_f32 v22, -v38, v39, 1.0
	s_delay_alu instid0(VALU_DEP_1) | instskip(NEXT) | instid1(VALU_DEP_3)
	v_fmac_f32_e32 v39, v22, v39
	v_fmac_f32_e32 v37, v18, v37
	ds_load_2addr_b64 v[18:21], v40 offset1:1
	ds_load_2addr_b64 v[22:25], v42 offset1:1
	v_dual_mul_f32 v45, v44, v39 :: v_dual_mul_f32 v43, v41, v37
	s_delay_alu instid0(VALU_DEP_1) | instskip(NEXT) | instid1(VALU_DEP_1)
	v_dual_fma_f32 v47, -v38, v45, v44 :: v_dual_fma_f32 v26, -v36, v43, v41
	v_fmac_f32_e32 v43, v26, v37
	ds_load_b128 v[26:29], v46
	ds_load_2addr_stride64_b64 v[30:33], v9 offset0:4 offset1:8
	s_wait_dscnt 0x3
	v_dual_fma_f32 v9, -v36, v43, v41 :: v_dual_mul_f32 v36, v11, -v20
	v_fmac_f32_e32 v45, v47, v39
	v_mul_f32_e32 v11, v11, v21
	s_delay_alu instid0(VALU_DEP_3) | instskip(NEXT) | instid1(VALU_DEP_4)
	v_div_fmas_f32 v9, v9, v37, v43
	v_fmac_f32_e32 v36, v21, v10
	s_wait_dscnt 0x2
	v_dual_fma_f32 v21, -v38, v45, v44 :: v_dual_mul_f32 v37, v17, -v24
	s_mov_b32 vcc_lo, s1
	v_div_fixup_f32 v9, v9, v34, 1.0
	v_dual_fmac_f32 v11, v20, v10 :: v_dual_mul_f32 v17, v17, v25
	s_delay_alu instid0(VALU_DEP_3) | instskip(NEXT) | instid1(VALU_DEP_3)
	v_div_fmas_f32 v21, v21, v39, v45
	v_dual_fmac_f32 v37, v25, v16 :: v_dual_mul_f32 v10, v36, v9
	s_delay_alu instid0(VALU_DEP_3) | instskip(NEXT) | instid1(VALU_DEP_3)
	v_dual_fmac_f32 v17, v24, v16 :: v_dual_mul_f32 v16, v9, v11
	v_div_fixup_f32 v25, v21, v35, 1.0
	s_delay_alu instid0(VALU_DEP_3)
	v_pk_mul_f32 v[20:21], v[10:11], v[22:23] op_sel:[0,1] op_sel_hi:[0,0] neg_lo:[0,1]
	s_wait_dscnt 0x1
	v_pk_mul_f32 v[34:35], v[10:11], v[26:27] op_sel:[0,1] op_sel_hi:[0,0] neg_lo:[0,1]
	v_pk_mul_f32 v[10:11], v[10:11], v[18:19] op_sel:[0,1] op_sel_hi:[0,0] neg_hi:[0,1]
	v_mul_f32_e32 v24, v37, v25
	v_mul_f32_e32 v36, v25, v17
	v_pk_fma_f32 v[20:21], v[22:23], v[16:17], v[20:21] op_sel_hi:[1,0,1]
	v_pk_fma_f32 v[26:27], v[26:27], v[16:17], v[34:35] op_sel_hi:[1,0,1]
	v_pk_fma_f32 v[10:11], v[18:19], v[16:17], v[10:11] op_sel_hi:[1,0,1] neg_lo:[1,0,0] neg_hi:[1,0,0]
	v_pk_mul_f32 v[22:23], v[24:25], v[14:15] op_sel:[0,1] op_sel_hi:[0,0] neg_lo:[0,1]
	s_wait_dscnt 0x0
	v_pk_mul_f32 v[34:35], v[24:25], v[32:33] op_sel:[0,1] op_sel_hi:[0,0] neg_lo:[0,1]
	v_pk_add_f32 v[12:13], v[12:13], v[20:21] neg_lo:[0,1] neg_hi:[0,1]
	v_pk_add_f32 v[20:21], v[28:29], v[26:27] neg_lo:[0,1] neg_hi:[0,1]
	v_pk_mul_f32 v[24:25], v[24:25], v[30:31] op_sel:[0,1] op_sel_hi:[0,0] neg_hi:[0,1]
	v_pk_fma_f32 v[14:15], v[14:15], v[36:37], v[22:23] op_sel_hi:[1,0,1]
	v_pk_fma_f32 v[22:23], v[32:33], v[36:37], v[34:35] op_sel_hi:[1,0,1]
	s_delay_alu instid0(VALU_DEP_3) | instskip(NEXT) | instid1(VALU_DEP_3)
	v_pk_fma_f32 v[16:17], v[30:31], v[36:37], v[24:25] op_sel_hi:[1,0,1] neg_lo:[1,0,0] neg_hi:[1,0,0]
	v_pk_add_f32 v[12:13], v[12:13], v[14:15] neg_lo:[0,1] neg_hi:[0,1]
	s_delay_alu instid0(VALU_DEP_3)
	v_pk_add_f32 v[14:15], v[20:21], v[22:23] neg_lo:[0,1] neg_hi:[0,1]
	ds_store_b64 v7, v[12:13] offset:8
	ds_store_b64 v46, v[14:15] offset:8
	;; [unrolled: 1-line block ×4, first 2 shown]
.LBB48_2:
	s_or_b32 exec_lo, exec_lo, s2
	s_delay_alu instid0(VALU_DEP_1)
	v_dual_lshlrev_b32 v7, 3, v1 :: v_dual_add_nc_u32 v8, v8, v6
	v_dual_add_nc_u32 v5, v5, v6 :: v_dual_add_nc_u32 v3, v3, v6
	s_wait_dscnt 0x0
	s_barrier_signal -1
	s_barrier_wait -1
	ds_load_b64 v[10:11], v7 offset:8
	ds_load_b64 v[12:13], v8 offset:8
	;; [unrolled: 1-line block ×4, first 2 shown]
	v_min_u32_e32 v3, 62, v0
	v_sub_nc_u32_e64 v5, v0, 1 clamp
	v_lshlrev_b32_e32 v8, 3, v0
	s_wait_dscnt 0x2
	ds_store_2addr_stride64_b64 v8, v[10:11], v[12:13] offset0:10 offset1:11
	s_wait_dscnt 0x1
	ds_store_2addr_stride64_b64 v8, v[14:15], v[16:17] offset0:12 offset1:14
	v_dual_lshlrev_b32 v3, 3, v3 :: v_dual_lshlrev_b32 v5, 3, v5
	s_wait_dscnt 0x0
	s_barrier_signal -1
	s_barrier_wait -1
	s_delay_alu instid0(VALU_DEP_1)
	v_add_nc_u32_e32 v3, 8, v3
	ds_load_2addr_stride64_b64 v[10:13], v5 offset0:10 offset1:11
	ds_load_2addr_stride64_b64 v[14:17], v3 offset0:10 offset1:11
	ds_load_2addr_stride64_b64 v[18:21], v8 offset0:10 offset1:11
	ds_load_2addr_stride64_b64 v[22:25], v8 offset0:12 offset1:14
	s_wait_dscnt 0x2
	v_mul_f32_e32 v34, v17, v17
	s_delay_alu instid0(VALU_DEP_1) | instskip(NEXT) | instid1(VALU_DEP_1)
	v_dual_mul_f32 v9, v13, v13 :: v_dual_fmac_f32 v34, v16, v16
	v_fmac_f32_e32 v9, v12, v12
	s_delay_alu instid0(VALU_DEP_2) | instskip(NEXT) | instid1(VALU_DEP_2)
	v_div_scale_f32 v36, null, v34, v34, 1.0
	v_div_scale_f32 v35, null, v9, v9, 1.0
	v_div_scale_f32 v39, vcc_lo, 1.0, v9, 1.0
	s_delay_alu instid0(VALU_DEP_3) | instskip(NEXT) | instid1(VALU_DEP_2)
	v_rcp_f32_e32 v38, v36
	v_rcp_f32_e32 v37, v35
	v_div_scale_f32 v40, s1, 1.0, v34, 1.0
	s_delay_alu instid0(TRANS32_DEP_2) | instskip(NEXT) | instid1(TRANS32_DEP_1)
	v_fma_f32 v27, -v36, v38, 1.0
	v_fma_f32 v26, -v35, v37, 1.0
	s_delay_alu instid0(VALU_DEP_1) | instskip(SKIP_2) | instid1(VALU_DEP_3)
	v_dual_fmac_f32 v38, v27, v38 :: v_dual_fmac_f32 v37, v26, v37
	v_sub_nc_u32_e64 v26, v0, 2 clamp
	v_min_u32_e32 v27, 61, v0
	v_dual_mul_f32 v42, v40, v38 :: v_dual_mul_f32 v41, v39, v37
	s_delay_alu instid0(VALU_DEP_2)
	v_dual_lshlrev_b32 v43, 3, v26 :: v_dual_lshlrev_b32 v45, 3, v27
	ds_load_2addr_stride64_b64 v[26:29], v5 offset0:12 offset1:14
	ds_load_2addr_stride64_b64 v[30:33], v3 offset0:12 offset1:14
	v_dual_fma_f32 v46, -v36, v42, v40 :: v_dual_fma_f32 v44, -v35, v41, v39
	s_wait_dscnt 0x3
	v_mul_f32_e32 v3, v13, v19
	s_wait_dscnt 0x0
	s_barrier_signal -1
	v_dual_fmac_f32 v42, v46, v38 :: v_dual_fmac_f32 v41, v44, v37
	v_mul_f32_e64 v5, v13, -v18
	v_dual_mul_f32 v13, v17, v23 :: v_dual_fmac_f32 v3, v18, v12
	s_delay_alu instid0(VALU_DEP_3) | instskip(NEXT) | instid1(VALU_DEP_3)
	v_dual_fma_f32 v36, -v36, v42, v40 :: v_dual_fma_f32 v35, -v35, v41, v39
	v_dual_mul_f32 v17, v17, -v22 :: v_dual_fmac_f32 v5, v19, v12
	s_delay_alu instid0(VALU_DEP_3) | instskip(SKIP_1) | instid1(VALU_DEP_3)
	v_fmac_f32_e32 v13, v22, v16
	s_barrier_wait -1
	v_div_fmas_f32 v35, v35, v37, v41
	s_mov_b32 vcc_lo, s1
	v_div_fmas_f32 v36, v36, v38, v42
	s_delay_alu instid0(VALU_DEP_2) | instskip(SKIP_1) | instid1(VALU_DEP_3)
	v_div_fixup_f32 v9, v35, v9, 1.0
	v_fmac_f32_e32 v17, v23, v16
	v_div_fixup_f32 v19, v36, v34, 1.0
	s_delay_alu instid0(VALU_DEP_3) | instskip(SKIP_1) | instid1(VALU_DEP_3)
	v_mul_f32_e32 v12, v5, v9
	v_dual_mul_f32 v16, v9, v3 :: v_dual_add_nc_u32 v5, 16, v45
	v_dual_mul_f32 v22, v19, v13 :: v_dual_mul_f32 v18, v17, v19
	s_delay_alu instid0(VALU_DEP_3) | instskip(SKIP_2) | instid1(VALU_DEP_4)
	v_pk_mul_f32 v[34:35], v[12:13], v[26:27] op_sel:[0,1] op_sel_hi:[0,0] neg_lo:[0,1]
	v_pk_mul_f32 v[36:37], v[12:13], v[28:29] op_sel:[0,1] op_sel_hi:[0,0] neg_lo:[0,1]
	v_pk_mul_f32 v[12:13], v[12:13], v[10:11] op_sel:[0,1] op_sel_hi:[0,0] neg_hi:[0,1]
	v_pk_mul_f32 v[38:39], v[18:19], v[14:15] op_sel:[0,1] op_sel_hi:[0,0] neg_lo:[0,1]
	s_delay_alu instid0(VALU_DEP_4)
	v_pk_fma_f32 v[26:27], v[26:27], v[16:17], v[34:35] op_sel_hi:[1,0,1]
	v_pk_mul_f32 v[40:41], v[18:19], v[32:33] op_sel:[0,1] op_sel_hi:[0,0] neg_lo:[0,1]
	v_pk_fma_f32 v[28:29], v[28:29], v[16:17], v[36:37] op_sel_hi:[1,0,1]
	v_pk_mul_f32 v[18:19], v[18:19], v[30:31] op_sel:[0,1] op_sel_hi:[0,0] neg_hi:[0,1]
	v_pk_fma_f32 v[14:15], v[14:15], v[22:23], v[38:39] op_sel_hi:[1,0,1]
	v_pk_add_f32 v[20:21], v[20:21], v[26:27] neg_lo:[0,1] neg_hi:[0,1]
	v_pk_fma_f32 v[32:33], v[32:33], v[22:23], v[40:41] op_sel_hi:[1,0,1]
	v_pk_add_f32 v[24:25], v[24:25], v[28:29] neg_lo:[0,1] neg_hi:[0,1]
	v_pk_fma_f32 v[10:11], v[10:11], v[16:17], v[12:13] op_sel_hi:[1,0,1] neg_lo:[1,0,0] neg_hi:[1,0,0]
	v_pk_fma_f32 v[12:13], v[30:31], v[22:23], v[18:19] op_sel_hi:[1,0,1] neg_lo:[1,0,0] neg_hi:[1,0,0]
	v_pk_add_f32 v[14:15], v[20:21], v[14:15] neg_lo:[0,1] neg_hi:[0,1]
	s_delay_alu instid0(VALU_DEP_4)
	v_pk_add_f32 v[16:17], v[24:25], v[32:33] neg_lo:[0,1] neg_hi:[0,1]
	ds_store_2addr_stride64_b64 v8, v[10:11], v[14:15] offset0:10 offset1:11
	ds_store_2addr_stride64_b64 v8, v[12:13], v[16:17] offset0:12 offset1:14
	s_wait_dscnt 0x0
	s_barrier_signal -1
	s_barrier_wait -1
	ds_load_2addr_stride64_b64 v[10:13], v43 offset0:10 offset1:11
	ds_load_2addr_stride64_b64 v[14:17], v5 offset0:10 offset1:11
	;; [unrolled: 1-line block ×4, first 2 shown]
	s_wait_dscnt 0x2
	v_mul_f32_e32 v9, v17, v17
	s_delay_alu instid0(VALU_DEP_1) | instskip(NEXT) | instid1(VALU_DEP_1)
	v_dual_mul_f32 v3, v13, v13 :: v_dual_fmac_f32 v9, v16, v16
	v_div_scale_f32 v35, null, v9, v9, 1.0
	v_div_scale_f32 v39, s1, 1.0, v9, 1.0
	s_delay_alu instid0(VALU_DEP_2) | instskip(SKIP_1) | instid1(TRANS32_DEP_1)
	v_rcp_f32_e32 v37, v35
	v_nop
	v_fma_f32 v27, -v35, v37, 1.0
	s_delay_alu instid0(VALU_DEP_1) | instskip(NEXT) | instid1(VALU_DEP_1)
	v_dual_fmac_f32 v3, v12, v12 :: v_dual_fmac_f32 v37, v27, v37
	v_div_scale_f32 v34, null, v3, v3, 1.0
	v_div_scale_f32 v38, vcc_lo, 1.0, v3, 1.0
	s_delay_alu instid0(VALU_DEP_3) | instskip(NEXT) | instid1(VALU_DEP_3)
	v_mul_f32_e32 v41, v39, v37
	v_rcp_f32_e32 v36, v34
	v_min_u32_e32 v27, 59, v0
	s_delay_alu instid0(VALU_DEP_1) | instskip(NEXT) | instid1(TRANS32_DEP_1)
	v_lshlrev_b32_e32 v45, 3, v27
	v_fma_f32 v26, -v34, v36, 1.0
	s_delay_alu instid0(VALU_DEP_1) | instskip(SKIP_1) | instid1(VALU_DEP_1)
	v_fmac_f32_e32 v36, v26, v36
	v_sub_nc_u32_e64 v26, v0, 4 clamp
	v_dual_mul_f32 v40, v38, v36 :: v_dual_lshlrev_b32 v42, 3, v26
	ds_load_2addr_stride64_b64 v[26:29], v43 offset0:12 offset1:14
	ds_load_2addr_stride64_b64 v[30:33], v5 offset0:12 offset1:14
	s_wait_dscnt 0x2
	v_dual_mul_f32 v43, v17, v23 :: v_dual_mul_f32 v17, v17, -v22
	v_dual_fma_f32 v44, -v34, v40, v38 :: v_dual_fma_f32 v46, -v35, v41, v39
	s_wait_dscnt 0x0
	s_delay_alu instid0(VALU_DEP_2) | instskip(NEXT) | instid1(VALU_DEP_2)
	v_dual_fmac_f32 v43, v22, v16 :: v_dual_fmac_f32 v17, v23, v16
	v_dual_fmac_f32 v40, v44, v36 :: v_dual_mul_f32 v5, v13, v19
	s_delay_alu instid0(VALU_DEP_3) | instskip(NEXT) | instid1(VALU_DEP_2)
	v_dual_fmac_f32 v41, v46, v37 :: v_dual_mul_f32 v13, v13, -v18
	v_dual_add_nc_u32 v44, 32, v45 :: v_dual_fma_f32 v34, -v34, v40, v38
	s_delay_alu instid0(VALU_DEP_2) | instskip(NEXT) | instid1(VALU_DEP_3)
	v_dual_fmac_f32 v5, v18, v12 :: v_dual_fma_f32 v35, -v35, v41, v39
	v_fmac_f32_e32 v13, v19, v12
	s_barrier_signal -1
	s_delay_alu instid0(VALU_DEP_3) | instskip(SKIP_3) | instid1(VALU_DEP_2)
	v_div_fmas_f32 v34, v34, v36, v40
	s_mov_b32 vcc_lo, s1
	s_barrier_wait -1
	v_div_fmas_f32 v35, v35, v37, v41
	v_div_fixup_f32 v3, v34, v3, 1.0
	s_delay_alu instid0(VALU_DEP_2) | instskip(NEXT) | instid1(VALU_DEP_2)
	v_div_fixup_f32 v9, v35, v9, 1.0
	v_dual_mul_f32 v12, v13, v3 :: v_dual_mul_f32 v16, v3, v5
	s_delay_alu instid0(VALU_DEP_2) | instskip(SKIP_1) | instid1(VALU_DEP_3)
	v_mul_f32_e32 v18, v17, v9
	v_mul_f32_e32 v22, v9, v43
	v_pk_mul_f32 v[34:35], v[12:13], v[26:27] op_sel:[0,1] op_sel_hi:[0,0] neg_lo:[0,1]
	v_pk_mul_f32 v[36:37], v[12:13], v[28:29] op_sel:[0,1] op_sel_hi:[0,0] neg_lo:[0,1]
	v_pk_mul_f32 v[12:13], v[12:13], v[10:11] op_sel:[0,1] op_sel_hi:[0,0] neg_hi:[0,1]
	v_pk_mul_f32 v[38:39], v[18:19], v[14:15] op_sel:[0,1] op_sel_hi:[0,0] neg_lo:[0,1]
	v_pk_mul_f32 v[40:41], v[18:19], v[32:33] op_sel:[0,1] op_sel_hi:[0,0] neg_lo:[0,1]
	v_pk_fma_f32 v[26:27], v[26:27], v[16:17], v[34:35] op_sel_hi:[1,0,1]
	v_pk_fma_f32 v[28:29], v[28:29], v[16:17], v[36:37] op_sel_hi:[1,0,1]
	v_pk_mul_f32 v[18:19], v[18:19], v[30:31] op_sel:[0,1] op_sel_hi:[0,0] neg_hi:[0,1]
	v_pk_fma_f32 v[14:15], v[14:15], v[22:23], v[38:39] op_sel_hi:[1,0,1]
	v_pk_fma_f32 v[32:33], v[32:33], v[22:23], v[40:41] op_sel_hi:[1,0,1]
	v_pk_add_f32 v[20:21], v[20:21], v[26:27] neg_lo:[0,1] neg_hi:[0,1]
	v_pk_add_f32 v[24:25], v[24:25], v[28:29] neg_lo:[0,1] neg_hi:[0,1]
	v_pk_fma_f32 v[10:11], v[10:11], v[16:17], v[12:13] op_sel_hi:[1,0,1] neg_lo:[1,0,0] neg_hi:[1,0,0]
	v_pk_fma_f32 v[12:13], v[30:31], v[22:23], v[18:19] op_sel_hi:[1,0,1] neg_lo:[1,0,0] neg_hi:[1,0,0]
	s_delay_alu instid0(VALU_DEP_4) | instskip(NEXT) | instid1(VALU_DEP_4)
	v_pk_add_f32 v[14:15], v[20:21], v[14:15] neg_lo:[0,1] neg_hi:[0,1]
	v_pk_add_f32 v[16:17], v[24:25], v[32:33] neg_lo:[0,1] neg_hi:[0,1]
	ds_store_2addr_stride64_b64 v8, v[10:11], v[14:15] offset0:10 offset1:11
	ds_store_2addr_stride64_b64 v8, v[12:13], v[16:17] offset0:12 offset1:14
	s_wait_dscnt 0x0
	s_barrier_signal -1
	s_barrier_wait -1
	ds_load_2addr_stride64_b64 v[10:13], v42 offset0:10 offset1:11
	ds_load_2addr_stride64_b64 v[14:17], v44 offset0:10 offset1:11
	;; [unrolled: 1-line block ×4, first 2 shown]
	s_wait_dscnt 0x3
	v_mul_f32_e32 v3, v13, v13
	s_wait_dscnt 0x2
	s_delay_alu instid0(VALU_DEP_1) | instskip(NEXT) | instid1(VALU_DEP_1)
	v_dual_mul_f32 v5, v17, v17 :: v_dual_fmac_f32 v3, v12, v12
	v_fmac_f32_e32 v5, v16, v16
	s_delay_alu instid0(VALU_DEP_2) | instskip(NEXT) | instid1(VALU_DEP_2)
	v_div_scale_f32 v9, null, v3, v3, 1.0
	v_div_scale_f32 v34, null, v5, v5, 1.0
	v_div_scale_f32 v37, vcc_lo, 1.0, v3, 1.0
	s_delay_alu instid0(VALU_DEP_3) | instskip(NEXT) | instid1(VALU_DEP_2)
	v_rcp_f32_e32 v35, v9
	v_rcp_f32_e32 v36, v34
	v_div_scale_f32 v38, s1, 1.0, v5, 1.0
	s_delay_alu instid0(TRANS32_DEP_2) | instskip(NEXT) | instid1(TRANS32_DEP_1)
	v_fma_f32 v26, -v9, v35, 1.0
	v_fma_f32 v27, -v34, v36, 1.0
	s_delay_alu instid0(VALU_DEP_1) | instskip(SKIP_2) | instid1(VALU_DEP_3)
	v_dual_fmac_f32 v35, v26, v35 :: v_dual_fmac_f32 v36, v27, v36
	v_sub_nc_u32_e64 v26, v0, 8 clamp
	v_min_u32_e32 v27, 55, v0
	v_dual_mul_f32 v39, v37, v35 :: v_dual_mul_f32 v40, v38, v36
	s_delay_alu instid0(VALU_DEP_2)
	v_dual_lshlrev_b32 v43, 3, v26 :: v_dual_lshlrev_b32 v45, 3, v27
	ds_load_2addr_stride64_b64 v[26:29], v42 offset0:12 offset1:14
	ds_load_2addr_stride64_b64 v[30:33], v44 offset0:12 offset1:14
	v_dual_fma_f32 v41, -v9, v39, v37 :: v_dual_fma_f32 v46, -v34, v40, v38
	s_wait_dscnt 0x2
	v_dual_mul_f32 v42, v17, v23 :: v_dual_mul_f32 v17, v17, -v22
	s_wait_dscnt 0x0
	s_delay_alu instid0(VALU_DEP_2) | instskip(SKIP_1) | instid1(VALU_DEP_3)
	v_dual_fmac_f32 v39, v41, v35 :: v_dual_fmac_f32 v40, v46, v36
	v_dual_mul_f32 v41, v13, v19 :: v_dual_mul_f32 v13, v13, -v18
	v_dual_fmac_f32 v17, v23, v16 :: v_dual_fmac_f32 v42, v22, v16
	s_delay_alu instid0(VALU_DEP_3) | instskip(NEXT) | instid1(VALU_DEP_3)
	v_dual_fma_f32 v9, -v9, v39, v37 :: v_dual_fma_f32 v34, -v34, v40, v38
	v_fmac_f32_e32 v13, v19, v12
	s_barrier_signal -1
	s_barrier_wait -1
	s_delay_alu instid0(VALU_DEP_2) | instskip(SKIP_2) | instid1(VALU_DEP_2)
	v_div_fmas_f32 v9, v9, v35, v39
	s_mov_b32 vcc_lo, s1
	v_div_fmas_f32 v34, v34, v36, v40
	v_div_fixup_f32 v3, v9, v3, 1.0
	v_dual_add_nc_u32 v9, 64, v45 :: v_dual_fmac_f32 v41, v18, v12
	s_delay_alu instid0(VALU_DEP_3) | instskip(NEXT) | instid1(VALU_DEP_2)
	v_div_fixup_f32 v5, v34, v5, 1.0
	v_dual_mul_f32 v12, v13, v3 :: v_dual_mul_f32 v16, v3, v41
	s_delay_alu instid0(VALU_DEP_2) | instskip(SKIP_1) | instid1(VALU_DEP_3)
	v_mul_f32_e32 v22, v5, v42
	v_mul_f32_e32 v18, v17, v5
	v_pk_mul_f32 v[34:35], v[12:13], v[26:27] op_sel:[0,1] op_sel_hi:[0,0] neg_lo:[0,1]
	v_pk_mul_f32 v[36:37], v[12:13], v[28:29] op_sel:[0,1] op_sel_hi:[0,0] neg_lo:[0,1]
	v_pk_mul_f32 v[12:13], v[12:13], v[10:11] op_sel:[0,1] op_sel_hi:[0,0] neg_hi:[0,1]
	s_delay_alu instid0(VALU_DEP_4) | instskip(NEXT) | instid1(VALU_DEP_4)
	v_pk_mul_f32 v[38:39], v[18:19], v[14:15] op_sel:[0,1] op_sel_hi:[0,0] neg_lo:[0,1]
	v_pk_fma_f32 v[26:27], v[26:27], v[16:17], v[34:35] op_sel_hi:[1,0,1]
	v_pk_mul_f32 v[40:41], v[18:19], v[32:33] op_sel:[0,1] op_sel_hi:[0,0] neg_lo:[0,1]
	v_pk_fma_f32 v[28:29], v[28:29], v[16:17], v[36:37] op_sel_hi:[1,0,1]
	v_pk_mul_f32 v[18:19], v[18:19], v[30:31] op_sel:[0,1] op_sel_hi:[0,0] neg_hi:[0,1]
	v_pk_fma_f32 v[14:15], v[14:15], v[22:23], v[38:39] op_sel_hi:[1,0,1]
	v_pk_add_f32 v[20:21], v[20:21], v[26:27] neg_lo:[0,1] neg_hi:[0,1]
	v_pk_fma_f32 v[32:33], v[32:33], v[22:23], v[40:41] op_sel_hi:[1,0,1]
	v_pk_add_f32 v[24:25], v[24:25], v[28:29] neg_lo:[0,1] neg_hi:[0,1]
	v_pk_fma_f32 v[10:11], v[10:11], v[16:17], v[12:13] op_sel_hi:[1,0,1] neg_lo:[1,0,0] neg_hi:[1,0,0]
	v_pk_fma_f32 v[12:13], v[30:31], v[22:23], v[18:19] op_sel_hi:[1,0,1] neg_lo:[1,0,0] neg_hi:[1,0,0]
	v_pk_add_f32 v[14:15], v[20:21], v[14:15] neg_lo:[0,1] neg_hi:[0,1]
	s_delay_alu instid0(VALU_DEP_4)
	v_pk_add_f32 v[16:17], v[24:25], v[32:33] neg_lo:[0,1] neg_hi:[0,1]
	ds_store_2addr_stride64_b64 v8, v[10:11], v[14:15] offset0:10 offset1:11
	ds_store_2addr_stride64_b64 v8, v[12:13], v[16:17] offset0:12 offset1:14
	s_wait_dscnt 0x0
	s_barrier_signal -1
	s_barrier_wait -1
	ds_load_2addr_stride64_b64 v[10:13], v43 offset0:10 offset1:11
	ds_load_2addr_stride64_b64 v[14:17], v9 offset0:10 offset1:11
	;; [unrolled: 1-line block ×4, first 2 shown]
	s_wait_dscnt 0x2
	v_mul_f32_e32 v5, v17, v17
	s_delay_alu instid0(VALU_DEP_1) | instskip(NEXT) | instid1(VALU_DEP_1)
	v_dual_mul_f32 v3, v13, v13 :: v_dual_fmac_f32 v5, v16, v16
	v_fmac_f32_e32 v3, v12, v12
	s_delay_alu instid0(VALU_DEP_2) | instskip(NEXT) | instid1(VALU_DEP_2)
	v_div_scale_f32 v35, null, v5, v5, 1.0
	v_div_scale_f32 v34, null, v3, v3, 1.0
	v_div_scale_f32 v38, vcc_lo, 1.0, v3, 1.0
	s_delay_alu instid0(VALU_DEP_3) | instskip(NEXT) | instid1(VALU_DEP_2)
	v_rcp_f32_e32 v37, v35
	v_rcp_f32_e32 v36, v34
	v_div_scale_f32 v39, s1, 1.0, v5, 1.0
	s_delay_alu instid0(TRANS32_DEP_2) | instskip(NEXT) | instid1(TRANS32_DEP_1)
	v_fma_f32 v27, -v35, v37, 1.0
	v_fma_f32 v26, -v34, v36, 1.0
	s_delay_alu instid0(VALU_DEP_1) | instskip(SKIP_2) | instid1(VALU_DEP_3)
	v_dual_fmac_f32 v36, v26, v36 :: v_dual_fmac_f32 v37, v27, v37
	v_sub_nc_u32_e64 v26, v0, 16 clamp
	v_min_u32_e32 v27, 47, v0
	v_dual_mul_f32 v40, v38, v36 :: v_dual_mul_f32 v41, v39, v37
	s_delay_alu instid0(VALU_DEP_2)
	v_dual_lshlrev_b32 v42, 3, v26 :: v_dual_lshlrev_b32 v45, 3, v27
	ds_load_2addr_stride64_b64 v[26:29], v43 offset0:12 offset1:14
	ds_load_2addr_stride64_b64 v[30:33], v9 offset0:12 offset1:14
	v_dual_fma_f32 v44, -v34, v40, v38 :: v_dual_fma_f32 v46, -v35, v41, v39
	s_wait_dscnt 0x2
	v_dual_mul_f32 v43, v17, v23 :: v_dual_mul_f32 v17, v17, -v22
	s_wait_dscnt 0x0
	s_delay_alu instid0(VALU_DEP_2) | instskip(SKIP_1) | instid1(VALU_DEP_3)
	v_dual_fmac_f32 v40, v44, v36 :: v_dual_mul_f32 v9, v13, v19
	v_dual_fmac_f32 v41, v46, v37 :: v_dual_mul_f32 v13, v13, -v18
	v_dual_fmac_f32 v17, v23, v16 :: v_dual_fmac_f32 v43, v22, v16
	s_delay_alu instid0(VALU_DEP_2) | instskip(NEXT) | instid1(VALU_DEP_4)
	v_dual_fma_f32 v34, -v34, v40, v38 :: v_dual_fma_f32 v35, -v35, v41, v39
	v_fmac_f32_e32 v9, v18, v12
	s_delay_alu instid0(VALU_DEP_4) | instskip(NEXT) | instid1(VALU_DEP_3)
	v_dual_fmac_f32 v13, v19, v12 :: v_dual_add_nc_u32 v44, 0x80, v45
	v_div_fmas_f32 v34, v34, v36, v40
	s_mov_b32 vcc_lo, s1
	s_barrier_signal -1
	v_div_fmas_f32 v35, v35, v37, v41
	s_barrier_wait -1
	v_div_fixup_f32 v3, v34, v3, 1.0
	s_delay_alu instid0(VALU_DEP_2) | instskip(NEXT) | instid1(VALU_DEP_2)
	v_div_fixup_f32 v5, v35, v5, 1.0
	v_dual_mul_f32 v12, v13, v3 :: v_dual_mul_f32 v16, v3, v9
	s_delay_alu instid0(VALU_DEP_2) | instskip(SKIP_1) | instid1(VALU_DEP_3)
	v_mul_f32_e32 v18, v17, v5
	v_mul_f32_e32 v22, v5, v43
	v_pk_mul_f32 v[34:35], v[12:13], v[26:27] op_sel:[0,1] op_sel_hi:[0,0] neg_lo:[0,1]
	v_pk_mul_f32 v[36:37], v[12:13], v[28:29] op_sel:[0,1] op_sel_hi:[0,0] neg_lo:[0,1]
	v_pk_mul_f32 v[12:13], v[12:13], v[10:11] op_sel:[0,1] op_sel_hi:[0,0] neg_hi:[0,1]
	v_pk_mul_f32 v[38:39], v[18:19], v[14:15] op_sel:[0,1] op_sel_hi:[0,0] neg_lo:[0,1]
	v_pk_mul_f32 v[40:41], v[18:19], v[32:33] op_sel:[0,1] op_sel_hi:[0,0] neg_lo:[0,1]
	v_pk_fma_f32 v[26:27], v[26:27], v[16:17], v[34:35] op_sel_hi:[1,0,1]
	v_pk_fma_f32 v[28:29], v[28:29], v[16:17], v[36:37] op_sel_hi:[1,0,1]
	v_pk_mul_f32 v[18:19], v[18:19], v[30:31] op_sel:[0,1] op_sel_hi:[0,0] neg_hi:[0,1]
	v_pk_fma_f32 v[14:15], v[14:15], v[22:23], v[38:39] op_sel_hi:[1,0,1]
	v_pk_fma_f32 v[32:33], v[32:33], v[22:23], v[40:41] op_sel_hi:[1,0,1]
	v_pk_add_f32 v[20:21], v[20:21], v[26:27] neg_lo:[0,1] neg_hi:[0,1]
	v_pk_add_f32 v[24:25], v[24:25], v[28:29] neg_lo:[0,1] neg_hi:[0,1]
	v_pk_fma_f32 v[10:11], v[10:11], v[16:17], v[12:13] op_sel_hi:[1,0,1] neg_lo:[1,0,0] neg_hi:[1,0,0]
	v_pk_fma_f32 v[12:13], v[30:31], v[22:23], v[18:19] op_sel_hi:[1,0,1] neg_lo:[1,0,0] neg_hi:[1,0,0]
	s_delay_alu instid0(VALU_DEP_4) | instskip(NEXT) | instid1(VALU_DEP_4)
	v_pk_add_f32 v[14:15], v[20:21], v[14:15] neg_lo:[0,1] neg_hi:[0,1]
	v_pk_add_f32 v[16:17], v[24:25], v[32:33] neg_lo:[0,1] neg_hi:[0,1]
	ds_store_2addr_stride64_b64 v8, v[10:11], v[14:15] offset0:10 offset1:11
	ds_store_2addr_stride64_b64 v8, v[12:13], v[16:17] offset0:12 offset1:14
	s_wait_dscnt 0x0
	s_barrier_signal -1
	s_barrier_wait -1
	ds_load_2addr_stride64_b64 v[10:13], v42 offset0:10 offset1:11
	ds_load_2addr_stride64_b64 v[14:17], v44 offset0:10 offset1:11
	;; [unrolled: 1-line block ×6, first 2 shown]
	s_wait_dscnt 0x0
	s_barrier_signal -1
	s_barrier_wait -1
	v_mul_f32_e32 v34, v17, v17
	s_delay_alu instid0(VALU_DEP_1) | instskip(NEXT) | instid1(VALU_DEP_1)
	v_dual_mul_f32 v42, v13, v19 :: v_dual_fmac_f32 v34, v16, v16
	v_div_scale_f32 v36, null, v34, v34, 1.0
	v_div_scale_f32 v40, s1, 1.0, v34, 1.0
	s_delay_alu instid0(VALU_DEP_2) | instskip(SKIP_1) | instid1(TRANS32_DEP_1)
	v_rcp_f32_e32 v38, v36
	v_nop
	v_fma_f32 v5, -v36, v38, 1.0
	s_delay_alu instid0(VALU_DEP_1) | instskip(SKIP_2) | instid1(VALU_DEP_3)
	v_fmac_f32_e32 v38, v5, v38
	v_dual_mul_f32 v9, v13, v13 :: v_dual_mov_b32 v5, 0
	v_dual_mul_f32 v13, v13, -v18 :: v_dual_fmac_f32 v42, v18, v12
	v_mul_f32_e32 v43, v40, v38
	s_delay_alu instid0(VALU_DEP_3) | instskip(NEXT) | instid1(VALU_DEP_2)
	v_fmac_f32_e32 v9, v12, v12
	v_dual_fmac_f32 v13, v19, v12 :: v_dual_fma_f32 v46, -v36, v43, v40
	s_delay_alu instid0(VALU_DEP_2) | instskip(SKIP_1) | instid1(VALU_DEP_2)
	v_div_scale_f32 v35, null, v9, v9, 1.0
	v_div_scale_f32 v39, vcc_lo, 1.0, v9, 1.0
	v_rcp_f32_e32 v37, v35
	v_nop
	s_delay_alu instid0(TRANS32_DEP_1) | instskip(NEXT) | instid1(VALU_DEP_1)
	v_fma_f32 v3, -v35, v37, 1.0
	v_dual_fmac_f32 v37, v3, v37 :: v_dual_ashrrev_i32 v3, 31, v2
	s_delay_alu instid0(VALU_DEP_1) | instskip(NEXT) | instid1(VALU_DEP_1)
	v_dual_mul_f32 v41, v39, v37 :: v_dual_fmac_f32 v43, v46, v38
	v_dual_fma_f32 v45, -v35, v41, v39 :: v_dual_fma_f32 v36, -v36, v43, v40
	s_delay_alu instid0(VALU_DEP_1) | instskip(SKIP_1) | instid1(VALU_DEP_1)
	v_fmac_f32_e32 v41, v45, v37
	v_dual_mul_f32 v44, v17, v23 :: v_dual_mul_f32 v17, v17, -v22
	v_dual_fma_f32 v35, -v35, v41, v39 :: v_dual_fmac_f32 v44, v22, v16
	s_delay_alu instid0(VALU_DEP_2) | instskip(NEXT) | instid1(VALU_DEP_2)
	v_fmac_f32_e32 v17, v23, v16
	v_div_fmas_f32 v35, v35, v37, v41
	s_mov_b32 vcc_lo, s1
	v_div_fmas_f32 v36, v36, v38, v43
	v_cmp_gt_u32_e32 vcc_lo, 32, v0
	s_delay_alu instid0(VALU_DEP_3) | instskip(NEXT) | instid1(VALU_DEP_3)
	v_div_fixup_f32 v9, v35, v9, 1.0
	v_div_fixup_f32 v19, v36, v34, 1.0
	s_delay_alu instid0(VALU_DEP_2) | instskip(SKIP_1) | instid1(VALU_DEP_3)
	v_mul_f32_e32 v12, v13, v9
	v_mul_f32_e32 v16, v9, v42
	v_dual_mul_f32 v18, v17, v19 :: v_dual_mul_f32 v22, v19, v44
	s_delay_alu instid0(VALU_DEP_3) | instskip(SKIP_2) | instid1(VALU_DEP_4)
	v_pk_mul_f32 v[34:35], v[12:13], v[26:27] op_sel:[0,1] op_sel_hi:[0,0] neg_lo:[0,1]
	v_pk_mul_f32 v[36:37], v[12:13], v[28:29] op_sel:[0,1] op_sel_hi:[0,0] neg_lo:[0,1]
	v_pk_mul_f32 v[12:13], v[12:13], v[10:11] op_sel:[0,1] op_sel_hi:[0,0] neg_hi:[0,1]
	v_pk_mul_f32 v[38:39], v[18:19], v[14:15] op_sel:[0,1] op_sel_hi:[0,0] neg_lo:[0,1]
	v_pk_mul_f32 v[40:41], v[18:19], v[32:33] op_sel:[0,1] op_sel_hi:[0,0] neg_lo:[0,1]
	v_pk_fma_f32 v[26:27], v[26:27], v[16:17], v[34:35] op_sel_hi:[1,0,1]
	v_pk_fma_f32 v[28:29], v[28:29], v[16:17], v[36:37] op_sel_hi:[1,0,1]
	v_pk_mul_f32 v[18:19], v[18:19], v[30:31] op_sel:[0,1] op_sel_hi:[0,0] neg_hi:[0,1]
	v_pk_fma_f32 v[14:15], v[14:15], v[22:23], v[38:39] op_sel_hi:[1,0,1]
	v_pk_fma_f32 v[32:33], v[32:33], v[22:23], v[40:41] op_sel_hi:[1,0,1]
	v_pk_add_f32 v[20:21], v[20:21], v[26:27] neg_lo:[0,1] neg_hi:[0,1]
	v_pk_add_f32 v[24:25], v[24:25], v[28:29] neg_lo:[0,1] neg_hi:[0,1]
	v_pk_fma_f32 v[10:11], v[10:11], v[16:17], v[12:13] op_sel_hi:[1,0,1] neg_lo:[1,0,0] neg_hi:[1,0,0]
	v_pk_fma_f32 v[12:13], v[30:31], v[22:23], v[18:19] op_sel_hi:[1,0,1] neg_lo:[1,0,0] neg_hi:[1,0,0]
	s_delay_alu instid0(VALU_DEP_4) | instskip(NEXT) | instid1(VALU_DEP_4)
	v_pk_add_f32 v[14:15], v[20:21], v[14:15] neg_lo:[0,1] neg_hi:[0,1]
	v_pk_add_f32 v[16:17], v[24:25], v[32:33] neg_lo:[0,1] neg_hi:[0,1]
	ds_store_2addr_stride64_b64 v8, v[10:11], v[14:15] offset0:10 offset1:11
	ds_store_2addr_stride64_b64 v8, v[12:13], v[16:17] offset0:12 offset1:14
	s_wait_dscnt 0x0
	s_barrier_signal -1
	s_barrier_wait -1
	s_and_saveexec_b32 s1, vcc_lo
	s_cbranch_execz .LBB48_4
; %bb.3:
	v_or_b32_e32 v9, 0x1600, v8
	v_or_b32_e32 v14, 0x1800, v8
	;; [unrolled: 1-line block ×4, first 2 shown]
	ds_load_2addr_b64 v[10:13], v9 offset1:32
	ds_load_b64 v[14:15], v14
	ds_load_b32 v16, v17
	ds_load_b64 v[18:19], v17
	ds_load_b64 v[20:21], v20 offset:256
	s_wait_dscnt 0x4
	v_pk_mul_f32 v[22:23], v[10:11], v[12:13] op_sel:[1,1] op_sel_hi:[1,0] neg_lo:[0,1]
	s_wait_dscnt 0x0
	v_pk_mul_f32 v[24:25], v[20:21], v[14:15] op_sel:[1,1] op_sel_hi:[1,0] neg_lo:[0,1]
	s_delay_alu instid0(VALU_DEP_2) | instskip(SKIP_1) | instid1(VALU_DEP_3)
	v_pk_fma_f32 v[22:23], v[12:13], v[10:11], v[22:23] op_sel_hi:[1,0,1]
	v_pk_mul_f32 v[34:35], v[20:21], v[18:19] op_sel:[1,1] op_sel_hi:[1,0] neg_lo:[0,1]
	v_pk_fma_f32 v[24:25], v[14:15], v[20:21], v[24:25] op_sel_hi:[1,0,1]
	s_delay_alu instid0(VALU_DEP_1) | instskip(SKIP_4) | instid1(VALU_DEP_1)
	v_pk_add_f32 v[22:23], v[22:23], v[24:25] neg_lo:[0,1] neg_hi:[0,1]
	ds_load_2addr_b32 v[24:25], v17 offset0:1 offset1:64
	ds_load_b32 v26, v17 offset:260
	ds_load_b64 v[28:29], v17 offset:256
	v_mul_f32_e32 v9, v23, v23
	v_fmac_f32_e32 v9, v22, v22
	s_delay_alu instid0(VALU_DEP_1) | instskip(SKIP_2) | instid1(VALU_DEP_2)
	v_div_scale_f32 v32, null, v9, v9, 1.0
	s_wait_dscnt 0x2
	v_pk_mul_f32 v[30:31], v[24:25], v[12:13] op_sel:[0,1] op_sel_hi:[0,0] neg_lo:[0,1]
	v_rcp_f32_e32 v36, v32
	v_mov_b32_e32 v24, v25
	s_delay_alu instid0(TRANS32_DEP_1) | instskip(NEXT) | instid1(VALU_DEP_1)
	v_fma_f32 v27, -v32, v36, 1.0
	v_fmac_f32_e32 v36, v27, v36
	v_div_scale_f32 v33, vcc_lo, 1.0, v9, 1.0
	s_delay_alu instid0(VALU_DEP_1) | instskip(NEXT) | instid1(VALU_DEP_1)
	v_mul_f32_e32 v17, v33, v36
	v_fma_f32 v27, -v32, v17, v33
	s_delay_alu instid0(VALU_DEP_1) | instskip(SKIP_2) | instid1(VALU_DEP_2)
	v_fmac_f32_e32 v17, v27, v36
	s_wait_dscnt 0x1
	v_pk_mul_f32 v[26:27], v[26:27], v[14:15] op_sel:[0,1] op_sel_hi:[0,0] neg_lo:[0,1]
	v_fma_f32 v25, -v32, v17, v33
	s_wait_dscnt 0x0
	v_pk_mul_f32 v[32:33], v[10:11], v[28:29] op_sel:[1,1] op_sel_hi:[1,0] neg_lo:[0,1]
	s_delay_alu instid0(VALU_DEP_2) | instskip(SKIP_1) | instid1(VALU_DEP_3)
	v_div_fmas_f32 v17, v25, v36, v17
	v_pk_fma_f32 v[14:15], v[14:15], v[24:25], v[26:27] op_sel_hi:[1,0,1]
	v_pk_fma_f32 v[10:11], v[28:29], v[10:11], v[32:33] op_sel_hi:[1,0,1]
	v_fma_f32 v24, v22, 0, -v23
	s_delay_alu instid0(VALU_DEP_4) | instskip(SKIP_2) | instid1(VALU_DEP_3)
	v_pk_fma_f32 v[12:13], v[12:13], v[16:17], v[30:31] op_sel_hi:[1,0,1]
	v_div_fixup_f32 v9, v17, v9, 1.0
	v_pk_fma_f32 v[16:17], v[18:19], v[20:21], v[34:35] op_sel_hi:[1,0,1]
	v_pk_add_f32 v[12:13], v[12:13], v[14:15] neg_lo:[0,1] neg_hi:[0,1]
	s_delay_alu instid0(VALU_DEP_3) | instskip(NEXT) | instid1(VALU_DEP_3)
	v_dual_fma_f32 v15, 0, v23, v22 :: v_dual_mul_f32 v14, v24, v9
	v_pk_add_f32 v[10:11], v[10:11], v[16:17] neg_lo:[0,1] neg_hi:[0,1]
	s_delay_alu instid0(VALU_DEP_2) | instskip(NEXT) | instid1(VALU_DEP_3)
	v_mul_f32_e32 v16, v15, v9
	v_pk_mul_f32 v[18:19], v[14:15], v[12:13] op_sel:[0,1] op_sel_hi:[0,0] neg_lo:[0,1]
	s_delay_alu instid0(VALU_DEP_3) | instskip(SKIP_1) | instid1(VALU_DEP_3)
	v_pk_mul_f32 v[14:15], v[14:15], v[10:11] op_sel:[0,1] op_sel_hi:[0,0] neg_lo:[0,1]
	v_add_nc_u32_e32 v9, 0x1800, v8
	v_pk_fma_f32 v[12:13], v[12:13], v[16:17], v[18:19] op_sel_hi:[1,0,1]
	s_delay_alu instid0(VALU_DEP_3)
	v_pk_fma_f32 v[10:11], v[10:11], v[16:17], v[14:15] op_sel_hi:[1,0,1]
	ds_store_2addr_b64 v9, v[12:13], v[10:11] offset0:64 offset1:96
.LBB48_4:
	s_or_b32 exec_lo, exec_lo, s1
	s_wait_dscnt 0x0
	s_barrier_signal -1
	s_barrier_wait -1
	ds_load_b64 v[10:11], v8 offset:6656
	v_lshlrev_b32_e32 v9, 4, v0
	s_delay_alu instid0(VALU_DEP_1)
	v_or_b32_e32 v8, 0xc00, v9
	s_wait_dscnt 0x0
	ds_store_b64 v9, v[10:11] offset:3080
	s_wait_dscnt 0x0
	s_barrier_signal -1
	s_barrier_wait -1
	s_and_saveexec_b32 s1, s0
	s_cbranch_execz .LBB48_10
; %bb.5:
	v_cmp_ne_u32_e32 vcc_lo, 0, v0
	v_lshl_or_b32 v0, v1, 3, 0x1000
                                        ; implicit-def: $vgpr1
	s_and_saveexec_b32 s0, vcc_lo
	s_delay_alu instid0(SALU_CYCLE_1)
	s_xor_b32 s0, exec_lo, s0
	s_cbranch_execz .LBB48_7
; %bb.6:
	ds_load_2addr_stride64_b64 v[10:13], v7 offset0:2 offset1:4
	v_add_nc_u32_e32 v16, -8, v8
	ds_load_b64 v[14:15], v7
	ds_load_b64 v[0:1], v0
	;; [unrolled: 1-line block ×3, first 2 shown]
	ds_load_b64 v[18:19], v8 offset:8
	s_wait_dscnt 0x1
	v_dual_mul_f32 v9, v11, v11 :: v_dual_mul_f32 v23, v17, v14
	s_delay_alu instid0(VALU_DEP_1) | instskip(SKIP_2) | instid1(VALU_DEP_3)
	v_dual_fmac_f32 v9, v10, v10 :: v_dual_mul_f32 v17, v17, -v15
	s_wait_dscnt 0x0
	v_mul_f32_e64 v24, v19, -v13
	v_fmac_f32_e32 v23, v15, v16
	s_delay_alu instid0(VALU_DEP_3) | instskip(SKIP_1) | instid1(VALU_DEP_2)
	v_div_scale_f32 v20, null, v9, v9, 1.0
	v_fmac_f32_e32 v17, v14, v16
	v_rcp_f32_e32 v7, v20
	s_delay_alu instid0(VALU_DEP_1) | instskip(NEXT) | instid1(TRANS32_DEP_1)
	v_sub_f32_e32 v0, v0, v17
	v_fma_f32 v21, -v20, v7, 1.0
	s_delay_alu instid0(VALU_DEP_1) | instskip(SKIP_1) | instid1(VALU_DEP_1)
	v_fmac_f32_e32 v7, v21, v7
	v_div_scale_f32 v22, vcc_lo, 1.0, v9, 1.0
	v_dual_mul_f32 v21, v22, v7 :: v_dual_mul_f32 v19, v19, v12
	s_delay_alu instid0(VALU_DEP_1) | instskip(NEXT) | instid1(VALU_DEP_2)
	v_fma_f32 v25, -v20, v21, v22
	v_dual_fmac_f32 v24, v12, v18 :: v_dual_fmac_f32 v19, v13, v18
	s_delay_alu instid0(VALU_DEP_2) | instskip(NEXT) | instid1(VALU_DEP_2)
	v_fmac_f32_e32 v21, v25, v7
	v_dual_sub_f32 v1, v1, v23 :: v_dual_sub_f32 v0, v0, v24
	s_delay_alu instid0(VALU_DEP_1) | instskip(NEXT) | instid1(VALU_DEP_1)
	v_dual_fma_f32 v12, -v20, v21, v22 :: v_dual_sub_f32 v1, v1, v19
	v_div_fmas_f32 v7, v12, v7, v21
	s_delay_alu instid0(VALU_DEP_2) | instskip(NEXT) | instid1(VALU_DEP_2)
	v_dual_mul_f32 v12, v11, v1 :: v_dual_mul_f32 v11, v11, -v0
	v_div_fixup_f32 v7, v7, v9, 1.0
	s_delay_alu instid0(VALU_DEP_2) | instskip(NEXT) | instid1(VALU_DEP_1)
	v_dual_fmac_f32 v12, v0, v10 :: v_dual_fmac_f32 v11, v1, v10
	v_dual_mul_f32 v0, v7, v12 :: v_dual_mul_f32 v1, v7, v11
                                        ; implicit-def: $vgpr7
	ds_store_b32 v8, v0
                                        ; implicit-def: $vgpr0
.LBB48_7:
	s_and_not1_saveexec_b32 s0, s0
	s_cbranch_execz .LBB48_9
; %bb.8:
	ds_load_2addr_stride64_b64 v[10:13], v7 offset0:2 offset1:4
	ds_load_b64 v[14:15], v8 offset:8
	s_wait_dscnt 0x1
	v_mul_f32_e32 v7, v11, v11
	s_delay_alu instid0(VALU_DEP_1) | instskip(NEXT) | instid1(VALU_DEP_1)
	v_fmac_f32_e32 v7, v10, v10
	v_div_scale_f32 v9, null, v7, v7, 1.0
	v_div_scale_f32 v17, vcc_lo, 1.0, v7, 1.0
	s_delay_alu instid0(VALU_DEP_2) | instskip(SKIP_1) | instid1(TRANS32_DEP_1)
	v_rcp_f32_e32 v16, v9
	v_nop
	v_fma_f32 v1, -v9, v16, 1.0
	s_delay_alu instid0(VALU_DEP_1) | instskip(SKIP_4) | instid1(VALU_DEP_2)
	v_fmac_f32_e32 v16, v1, v16
	ds_load_b64 v[0:1], v0
	s_wait_dscnt 0x1
	v_dual_mul_f32 v20, v15, v12 :: v_dual_mul_f32 v15, v15, -v13
	v_mul_f32_e32 v18, v17, v16
	v_dual_fmac_f32 v20, v13, v14 :: v_dual_fmac_f32 v15, v12, v14
	s_delay_alu instid0(VALU_DEP_2) | instskip(NEXT) | instid1(VALU_DEP_1)
	v_fma_f32 v19, -v9, v18, v17
	v_fmac_f32_e32 v18, v19, v16
	s_wait_dscnt 0x0
	s_delay_alu instid0(VALU_DEP_1) | instskip(SKIP_1) | instid1(VALU_DEP_2)
	v_dual_fma_f32 v9, -v9, v18, v17 :: v_dual_sub_f32 v0, v0, v15
	v_sub_f32_e32 v1, v1, v20
	v_div_fmas_f32 v9, v9, v16, v18
	s_delay_alu instid0(VALU_DEP_2) | instskip(NEXT) | instid1(VALU_DEP_2)
	v_dual_mul_f32 v12, v11, v1 :: v_dual_mul_f32 v11, v11, -v0
	v_div_fixup_f32 v7, v9, v7, 1.0
	s_delay_alu instid0(VALU_DEP_2) | instskip(NEXT) | instid1(VALU_DEP_1)
	v_dual_fmac_f32 v12, v0, v10 :: v_dual_fmac_f32 v11, v1, v10
	v_mul_f32_e32 v0, v7, v12
	s_delay_alu instid0(VALU_DEP_2)
	v_mul_f32_e32 v1, v11, v7
	ds_store_b32 v8, v0
.LBB48_9:
	s_or_b32 exec_lo, exec_lo, s0
	ds_store_b32 v8, v1 offset:4
.LBB48_10:
	s_or_b32 exec_lo, exec_lo, s1
	v_lshl_add_u64 v[0:1], v[2:3], 3, s[10:11]
	v_lshl_add_u64 v[2:3], v[4:5], 3, s[10:11]
	v_sub_nc_u32_e32 v4, v8, v6
	s_wait_dscnt 0x0
	s_barrier_signal -1
	s_barrier_wait -1
	ds_load_2addr_stride64_b64 v[4:7], v4 offset1:1
	s_wait_dscnt 0x0
	s_clause 0x1
	global_store_b64 v[0:1], v[4:5], off
	global_store_b64 v[2:3], v[6:7], off
	s_endpgm
	.section	.rodata,"a",@progbits
	.p2align	6, 0x0
	.amdhsa_kernel _ZN9rocsparseL51gtsv_nopivot_strided_batch_crpcr_pow2_shared_kernelILj64ELj64E21rocsparse_complex_numIfEEEviiiPKT1_S5_S5_PS3_
		.amdhsa_group_segment_fixed_size 7680
		.amdhsa_private_segment_fixed_size 0
		.amdhsa_kernarg_size 48
		.amdhsa_user_sgpr_count 2
		.amdhsa_user_sgpr_dispatch_ptr 0
		.amdhsa_user_sgpr_queue_ptr 0
		.amdhsa_user_sgpr_kernarg_segment_ptr 1
		.amdhsa_user_sgpr_dispatch_id 0
		.amdhsa_user_sgpr_kernarg_preload_length 0
		.amdhsa_user_sgpr_kernarg_preload_offset 0
		.amdhsa_user_sgpr_private_segment_size 0
		.amdhsa_wavefront_size32 1
		.amdhsa_uses_dynamic_stack 0
		.amdhsa_enable_private_segment 0
		.amdhsa_system_sgpr_workgroup_id_x 1
		.amdhsa_system_sgpr_workgroup_id_y 0
		.amdhsa_system_sgpr_workgroup_id_z 0
		.amdhsa_system_sgpr_workgroup_info 0
		.amdhsa_system_vgpr_workitem_id 0
		.amdhsa_next_free_vgpr 65
		.amdhsa_next_free_sgpr 13
		.amdhsa_named_barrier_count 0
		.amdhsa_reserve_vcc 1
		.amdhsa_float_round_mode_32 0
		.amdhsa_float_round_mode_16_64 0
		.amdhsa_float_denorm_mode_32 3
		.amdhsa_float_denorm_mode_16_64 3
		.amdhsa_fp16_overflow 0
		.amdhsa_memory_ordered 1
		.amdhsa_forward_progress 1
		.amdhsa_inst_pref_size 38
		.amdhsa_round_robin_scheduling 0
		.amdhsa_exception_fp_ieee_invalid_op 0
		.amdhsa_exception_fp_denorm_src 0
		.amdhsa_exception_fp_ieee_div_zero 0
		.amdhsa_exception_fp_ieee_overflow 0
		.amdhsa_exception_fp_ieee_underflow 0
		.amdhsa_exception_fp_ieee_inexact 0
		.amdhsa_exception_int_div_zero 0
	.end_amdhsa_kernel
	.section	.text._ZN9rocsparseL51gtsv_nopivot_strided_batch_crpcr_pow2_shared_kernelILj64ELj64E21rocsparse_complex_numIfEEEviiiPKT1_S5_S5_PS3_,"axG",@progbits,_ZN9rocsparseL51gtsv_nopivot_strided_batch_crpcr_pow2_shared_kernelILj64ELj64E21rocsparse_complex_numIfEEEviiiPKT1_S5_S5_PS3_,comdat
.Lfunc_end48:
	.size	_ZN9rocsparseL51gtsv_nopivot_strided_batch_crpcr_pow2_shared_kernelILj64ELj64E21rocsparse_complex_numIfEEEviiiPKT1_S5_S5_PS3_, .Lfunc_end48-_ZN9rocsparseL51gtsv_nopivot_strided_batch_crpcr_pow2_shared_kernelILj64ELj64E21rocsparse_complex_numIfEEEviiiPKT1_S5_S5_PS3_
                                        ; -- End function
	.set _ZN9rocsparseL51gtsv_nopivot_strided_batch_crpcr_pow2_shared_kernelILj64ELj64E21rocsparse_complex_numIfEEEviiiPKT1_S5_S5_PS3_.num_vgpr, 48
	.set _ZN9rocsparseL51gtsv_nopivot_strided_batch_crpcr_pow2_shared_kernelILj64ELj64E21rocsparse_complex_numIfEEEviiiPKT1_S5_S5_PS3_.num_agpr, 0
	.set _ZN9rocsparseL51gtsv_nopivot_strided_batch_crpcr_pow2_shared_kernelILj64ELj64E21rocsparse_complex_numIfEEEviiiPKT1_S5_S5_PS3_.numbered_sgpr, 13
	.set _ZN9rocsparseL51gtsv_nopivot_strided_batch_crpcr_pow2_shared_kernelILj64ELj64E21rocsparse_complex_numIfEEEviiiPKT1_S5_S5_PS3_.num_named_barrier, 0
	.set _ZN9rocsparseL51gtsv_nopivot_strided_batch_crpcr_pow2_shared_kernelILj64ELj64E21rocsparse_complex_numIfEEEviiiPKT1_S5_S5_PS3_.private_seg_size, 0
	.set _ZN9rocsparseL51gtsv_nopivot_strided_batch_crpcr_pow2_shared_kernelILj64ELj64E21rocsparse_complex_numIfEEEviiiPKT1_S5_S5_PS3_.uses_vcc, 1
	.set _ZN9rocsparseL51gtsv_nopivot_strided_batch_crpcr_pow2_shared_kernelILj64ELj64E21rocsparse_complex_numIfEEEviiiPKT1_S5_S5_PS3_.uses_flat_scratch, 0
	.set _ZN9rocsparseL51gtsv_nopivot_strided_batch_crpcr_pow2_shared_kernelILj64ELj64E21rocsparse_complex_numIfEEEviiiPKT1_S5_S5_PS3_.has_dyn_sized_stack, 0
	.set _ZN9rocsparseL51gtsv_nopivot_strided_batch_crpcr_pow2_shared_kernelILj64ELj64E21rocsparse_complex_numIfEEEviiiPKT1_S5_S5_PS3_.has_recursion, 0
	.set _ZN9rocsparseL51gtsv_nopivot_strided_batch_crpcr_pow2_shared_kernelILj64ELj64E21rocsparse_complex_numIfEEEviiiPKT1_S5_S5_PS3_.has_indirect_call, 0
	.section	.AMDGPU.csdata,"",@progbits
; Kernel info:
; codeLenInByte = 4780
; TotalNumSgprs: 15
; NumVgprs: 48
; ScratchSize: 0
; MemoryBound: 0
; FloatMode: 240
; IeeeMode: 1
; LDSByteSize: 7680 bytes/workgroup (compile time only)
; SGPRBlocks: 0
; VGPRBlocks: 4
; NumSGPRsForWavesPerEU: 15
; NumVGPRsForWavesPerEU: 65
; NamedBarCnt: 0
; Occupancy: 11
; WaveLimiterHint : 0
; COMPUTE_PGM_RSRC2:SCRATCH_EN: 0
; COMPUTE_PGM_RSRC2:USER_SGPR: 2
; COMPUTE_PGM_RSRC2:TRAP_HANDLER: 0
; COMPUTE_PGM_RSRC2:TGID_X_EN: 1
; COMPUTE_PGM_RSRC2:TGID_Y_EN: 0
; COMPUTE_PGM_RSRC2:TGID_Z_EN: 0
; COMPUTE_PGM_RSRC2:TIDIG_COMP_CNT: 0
	.section	.text._ZN9rocsparseL51gtsv_nopivot_strided_batch_crpcr_pow2_shared_kernelILj128ELj64E21rocsparse_complex_numIfEEEviiiPKT1_S5_S5_PS3_,"axG",@progbits,_ZN9rocsparseL51gtsv_nopivot_strided_batch_crpcr_pow2_shared_kernelILj128ELj64E21rocsparse_complex_numIfEEEviiiPKT1_S5_S5_PS3_,comdat
	.globl	_ZN9rocsparseL51gtsv_nopivot_strided_batch_crpcr_pow2_shared_kernelILj128ELj64E21rocsparse_complex_numIfEEEviiiPKT1_S5_S5_PS3_ ; -- Begin function _ZN9rocsparseL51gtsv_nopivot_strided_batch_crpcr_pow2_shared_kernelILj128ELj64E21rocsparse_complex_numIfEEEviiiPKT1_S5_S5_PS3_
	.p2align	8
	.type	_ZN9rocsparseL51gtsv_nopivot_strided_batch_crpcr_pow2_shared_kernelILj128ELj64E21rocsparse_complex_numIfEEEviiiPKT1_S5_S5_PS3_,@function
_ZN9rocsparseL51gtsv_nopivot_strided_batch_crpcr_pow2_shared_kernelILj128ELj64E21rocsparse_complex_numIfEEEviiiPKT1_S5_S5_PS3_: ; @_ZN9rocsparseL51gtsv_nopivot_strided_batch_crpcr_pow2_shared_kernelILj128ELj64E21rocsparse_complex_numIfEEEviiiPKT1_S5_S5_PS3_
; %bb.0:
	s_load_b32 s2, s[0:1], 0x8
	s_bfe_u32 s3, ttmp6, 0x4000c
	s_load_b256 s[4:11], s[0:1], 0x10
	s_add_co_i32 s3, s3, 1
	s_and_b32 s12, ttmp6, 15
	s_wait_xcnt 0x0
	s_mul_i32 s0, ttmp9, s3
	s_getreg_b32 s1, hwreg(HW_REG_IB_STS2, 6, 4)
	s_add_co_i32 s12, s12, s0
	s_cmp_eq_u32 s1, 0
	v_dual_lshlrev_b32 v14, 3, v0 :: v_dual_add_nc_u32 v17, 1, v0
	s_cselect_b32 s0, ttmp9, s12
	s_wait_kmcnt 0x0
	v_mad_u32 v2, s2, s0, v0
	v_cmp_gt_u32_e64 s0, 0x80, v0
	s_delay_alu instid0(VALU_DEP_2)
	v_add_nc_u32_e32 v4, 0x80, v2
	s_clause 0x3
	global_load_b64 v[6:7], v2, s[4:5] scale_offset
	global_load_b64 v[8:9], v2, s[6:7] scale_offset
	;; [unrolled: 1-line block ×4, first 2 shown]
	s_clause 0x3
	global_load_b64 v[18:19], v4, s[4:5] scale_offset
	global_load_b64 v[20:21], v4, s[6:7] scale_offset
	;; [unrolled: 1-line block ×4, first 2 shown]
	s_wait_loadcnt 0x3
	ds_store_2addr_stride64_b64 v14, v[6:7], v[18:19] offset1:2
	s_wait_loadcnt 0x2
	ds_store_2addr_stride64_b64 v14, v[8:9], v[20:21] offset0:4 offset1:6
	s_wait_loadcnt 0x1
	ds_store_2addr_stride64_b64 v14, v[10:11], v[22:23] offset0:8 offset1:10
	;; [unrolled: 2-line block ×3, first 2 shown]
	s_wait_dscnt 0x0
	s_barrier_signal -1
	s_barrier_wait -1
	s_and_saveexec_b32 s2, s0
	s_cbranch_execz .LBB49_2
; %bb.1:
	v_dual_lshlrev_b32 v1, 1, v17 :: v_dual_lshlrev_b32 v3, 4, v17
	s_delay_alu instid0(VALU_DEP_1)
	v_min_u32_e32 v1, 0xff, v1
	ds_load_b128 v[6:9], v3 offset:2032
	v_add_nc_u32_e32 v37, -8, v3
	v_add_nc_u32_e32 v23, 0x800, v3
	s_wait_dscnt 0x0
	v_dual_lshlrev_b32 v1, 3, v1 :: v_dual_mul_f32 v5, v7, v7
	ds_load_2addr_stride64_b64 v[10:13], v1 offset1:4
	ds_load_b128 v[18:21], v3 offset:8176
	ds_load_b64 v[30:31], v37
	s_wait_dscnt 0x2
	v_dual_fmac_f32 v5, v6, v6 :: v_dual_mul_f32 v15, v13, v13
	s_delay_alu instid0(VALU_DEP_1) | instskip(SKIP_1) | instid1(VALU_DEP_3)
	v_div_scale_f32 v16, null, v5, v5, 1.0
	v_div_scale_f32 v38, vcc_lo, 1.0, v5, 1.0
	v_fmac_f32_e32 v15, v12, v12
	s_delay_alu instid0(VALU_DEP_3) | instskip(NEXT) | instid1(VALU_DEP_1)
	v_rcp_f32_e32 v34, v16
	v_div_scale_f32 v35, null, v15, v15, 1.0
	v_div_scale_f32 v40, s1, 1.0, v15, 1.0
	s_delay_alu instid0(TRANS32_DEP_1) | instskip(NEXT) | instid1(VALU_DEP_3)
	v_fma_f32 v22, -v16, v34, 1.0
	v_rcp_f32_e32 v36, v35
	s_delay_alu instid0(VALU_DEP_1) | instskip(NEXT) | instid1(TRANS32_DEP_1)
	v_fmac_f32_e32 v34, v22, v34
	v_fma_f32 v22, -v35, v36, 1.0
	s_delay_alu instid0(VALU_DEP_1) | instskip(NEXT) | instid1(VALU_DEP_3)
	v_fmac_f32_e32 v36, v22, v36
	v_mul_f32_e32 v39, v38, v34
	ds_load_2addr_b64 v[22:25], v23 offset0:254 offset1:255
	v_mul_f32_e32 v41, v40, v36
	v_fma_f32 v26, -v16, v39, v38
	s_delay_alu instid0(VALU_DEP_1) | instskip(NEXT) | instid1(VALU_DEP_3)
	v_dual_add_nc_u32 v27, -16, v3 :: v_dual_fmac_f32 v39, v26, v34
	v_fma_f32 v42, -v35, v41, v40
	ds_load_b64 v[32:33], v27
	ds_load_2addr_stride64_b64 v[26:29], v1 offset0:8 offset1:16
	s_wait_dscnt 0x3
	v_dual_fma_f32 v1, -v16, v39, v38 :: v_dual_mul_f32 v16, v7, -v30
	v_dual_fmac_f32 v41, v42, v36 :: v_dual_mul_f32 v7, v7, v31
	s_delay_alu instid0(VALU_DEP_2) | instskip(SKIP_1) | instid1(VALU_DEP_3)
	v_div_fmas_f32 v1, v1, v34, v39
	s_wait_dscnt 0x2
	v_dual_fmac_f32 v16, v31, v6 :: v_dual_mul_f32 v34, v13, -v24
	s_delay_alu instid0(VALU_DEP_3) | instskip(SKIP_3) | instid1(VALU_DEP_3)
	v_dual_fma_f32 v31, -v35, v41, v40 :: v_dual_fmac_f32 v7, v30, v6
	s_mov_b32 vcc_lo, s1
	v_div_fixup_f32 v1, v1, v5, 1.0
	v_mul_f32_e32 v13, v13, v25
	v_div_fmas_f32 v5, v31, v36, v41
	s_delay_alu instid0(VALU_DEP_3) | instskip(NEXT) | instid1(VALU_DEP_3)
	v_dual_fmac_f32 v34, v25, v12 :: v_dual_mul_f32 v6, v16, v1
	v_dual_fmac_f32 v13, v24, v12 :: v_dual_mul_f32 v12, v1, v7
	s_delay_alu instid0(VALU_DEP_3) | instskip(SKIP_1) | instid1(VALU_DEP_4)
	v_div_fixup_f32 v5, v5, v15, 1.0
	v_add_nc_u32_e32 v1, 0x1f8, v3
	v_pk_mul_f32 v[24:25], v[6:7], v[22:23] op_sel:[0,1] op_sel_hi:[0,0] neg_lo:[0,1]
	v_pk_mul_f32 v[30:31], v[6:7], v[18:19] op_sel:[0,1] op_sel_hi:[0,0] neg_lo:[0,1]
	s_wait_dscnt 0x1
	v_pk_mul_f32 v[6:7], v[6:7], v[32:33] op_sel:[0,1] op_sel_hi:[0,0] neg_hi:[0,1]
	v_mul_f32_e32 v16, v34, v5
	v_mul_f32_e32 v34, v5, v13
	v_pk_fma_f32 v[22:23], v[22:23], v[12:13], v[24:25] op_sel_hi:[1,0,1]
	v_pk_fma_f32 v[18:19], v[18:19], v[12:13], v[30:31] op_sel_hi:[1,0,1]
	v_pk_fma_f32 v[6:7], v[32:33], v[12:13], v[6:7] op_sel_hi:[1,0,1] neg_lo:[1,0,0] neg_hi:[1,0,0]
	s_wait_dscnt 0x0
	v_pk_mul_f32 v[24:25], v[16:17], v[28:29] op_sel:[0,1] op_sel_hi:[0,0] neg_lo:[0,1]
	v_pk_mul_f32 v[30:31], v[16:17], v[10:11] op_sel:[0,1] op_sel_hi:[0,0] neg_lo:[0,1]
	v_pk_add_f32 v[8:9], v[8:9], v[22:23] neg_lo:[0,1] neg_hi:[0,1]
	v_pk_add_f32 v[18:19], v[20:21], v[18:19] neg_lo:[0,1] neg_hi:[0,1]
	v_pk_mul_f32 v[22:23], v[16:17], v[26:27] op_sel:[0,1] op_sel_hi:[0,0] neg_hi:[0,1]
	v_pk_fma_f32 v[20:21], v[28:29], v[34:35], v[24:25] op_sel_hi:[1,0,1]
	v_pk_fma_f32 v[10:11], v[10:11], v[34:35], v[30:31] op_sel_hi:[1,0,1]
	s_delay_alu instid0(VALU_DEP_2) | instskip(NEXT) | instid1(VALU_DEP_4)
	v_pk_add_f32 v[12:13], v[18:19], v[20:21] neg_lo:[0,1] neg_hi:[0,1]
	v_pk_fma_f32 v[18:19], v[26:27], v[34:35], v[22:23] op_sel_hi:[1,0,1] neg_lo:[1,0,0] neg_hi:[1,0,0]
	s_delay_alu instid0(VALU_DEP_3)
	v_pk_add_f32 v[8:9], v[8:9], v[10:11] neg_lo:[0,1] neg_hi:[0,1]
	ds_store_b64 v3, v[12:13] offset:8184
	ds_store_b64 v37, v[6:7]
	ds_store_2addr_stride64_b64 v1, v[8:9], v[18:19] offset0:3 offset1:7
.LBB49_2:
	s_or_b32 exec_lo, exec_lo, s2
	v_cmp_gt_u32_e64 s1, 64, v0
	v_lshlrev_b32_e32 v1, 5, v17
	s_wait_dscnt 0x0
	s_barrier_signal -1
	s_barrier_wait -1
	s_and_saveexec_b32 s3, s1
	s_cbranch_execz .LBB49_4
; %bb.3:
	ds_load_2addr_b64 v[6:9], v1 offset0:253 offset1:255
	v_lshl_or_b32 v3, v17, 2, 1
	v_subrev_nc_u32_e32 v26, 24, v1
	v_add_nc_u32_e32 v19, 0x800, v1
	v_add_nc_u32_e32 v37, -8, v1
	s_delay_alu instid0(VALU_DEP_4) | instskip(SKIP_4) | instid1(VALU_DEP_1)
	v_min_u32_e32 v3, 0xff, v3
	ds_load_b64 v[30:31], v37
	v_add_nc_u32_e32 v23, 0x1800, v1
	s_wait_dscnt 0x1
	v_mul_f32_e32 v5, v7, v7
	v_dual_lshlrev_b32 v3, 3, v3 :: v_dual_fmac_f32 v5, v6, v6
	ds_load_2addr_stride64_b64 v[10:13], v3 offset1:4
	v_div_scale_f32 v16, null, v5, v5, 1.0
	v_div_scale_f32 v38, vcc_lo, 1.0, v5, 1.0
	s_delay_alu instid0(VALU_DEP_2) | instskip(SKIP_1) | instid1(TRANS32_DEP_1)
	v_rcp_f32_e32 v34, v16
	v_nop
	v_fma_f32 v18, -v16, v34, 1.0
	s_wait_dscnt 0x0
	s_delay_alu instid0(VALU_DEP_1) | instskip(NEXT) | instid1(VALU_DEP_1)
	v_dual_mul_f32 v15, v13, v13 :: v_dual_fmac_f32 v34, v18, v34
	v_fmac_f32_e32 v15, v12, v12
	s_delay_alu instid0(VALU_DEP_1) | instskip(SKIP_1) | instid1(VALU_DEP_2)
	v_div_scale_f32 v35, null, v15, v15, 1.0
	v_div_scale_f32 v40, s2, 1.0, v15, 1.0
	v_rcp_f32_e32 v36, v35
	v_nop
	s_delay_alu instid0(TRANS32_DEP_1) | instskip(NEXT) | instid1(VALU_DEP_1)
	v_fma_f32 v18, -v35, v36, 1.0
	v_fmac_f32_e32 v36, v18, v36
	v_mul_f32_e32 v39, v38, v34
	ds_load_2addr_b64 v[18:21], v19 offset0:253 offset1:255
	v_mul_f32_e32 v41, v40, v36
	s_delay_alu instid0(VALU_DEP_1) | instskip(NEXT) | instid1(VALU_DEP_1)
	v_dual_fma_f32 v22, -v16, v39, v38 :: v_dual_fma_f32 v42, -v35, v41, v40
	v_fmac_f32_e32 v39, v22, v34
	ds_load_2addr_b64 v[22:25], v23 offset0:253 offset1:255
	ds_load_b64 v[32:33], v26
	ds_load_2addr_stride64_b64 v[26:29], v3 offset0:8 offset1:16
	v_dual_fmac_f32 v41, v42, v36 :: v_dual_fma_f32 v3, -v16, v39, v38
	v_dual_mul_f32 v16, v7, -v30 :: v_dual_mul_f32 v7, v7, v31
	s_delay_alu instid0(VALU_DEP_2) | instskip(NEXT) | instid1(VALU_DEP_2)
	v_div_fmas_f32 v3, v3, v34, v39
	v_fmac_f32_e32 v16, v31, v6
	s_wait_dscnt 0x3
	v_dual_fma_f32 v31, -v35, v41, v40 :: v_dual_mul_f32 v38, v13, -v20
	s_mov_b32 vcc_lo, s2
	v_div_fixup_f32 v3, v3, v5, 1.0
	v_fmac_f32_e32 v7, v30, v6
	s_delay_alu instid0(VALU_DEP_3) | instskip(NEXT) | instid1(VALU_DEP_3)
	v_div_fmas_f32 v5, v31, v36, v41
	v_dual_mul_f32 v13, v13, v21 :: v_dual_mul_f32 v6, v16, v3
	s_delay_alu instid0(VALU_DEP_3) | instskip(NEXT) | instid1(VALU_DEP_2)
	v_dual_mul_f32 v16, v3, v7 :: v_dual_fmac_f32 v38, v21, v12
	v_fmac_f32_e32 v13, v20, v12
	s_delay_alu instid0(VALU_DEP_4) | instskip(NEXT) | instid1(VALU_DEP_4)
	v_div_fixup_f32 v5, v5, v15, 1.0
	v_pk_mul_f32 v[30:31], v[6:7], v[18:19] op_sel:[0,1] op_sel_hi:[0,0] neg_lo:[0,1]
	s_wait_dscnt 0x2
	v_pk_mul_f32 v[34:35], v[6:7], v[22:23] op_sel:[0,1] op_sel_hi:[0,0] neg_lo:[0,1]
	s_wait_dscnt 0x1
	v_pk_mul_f32 v[6:7], v[6:7], v[32:33] op_sel:[0,1] op_sel_hi:[0,0] neg_hi:[0,1]
	v_add_nc_u32_e32 v3, 0x1f8, v1
	v_mul_f32_e32 v12, v38, v5
	v_pk_fma_f32 v[18:19], v[18:19], v[16:17], v[30:31] op_sel_hi:[1,0,1]
	v_pk_fma_f32 v[20:21], v[22:23], v[16:17], v[34:35] op_sel_hi:[1,0,1]
	v_mul_f32_e32 v22, v5, v13
	v_pk_fma_f32 v[6:7], v[32:33], v[16:17], v[6:7] op_sel_hi:[1,0,1] neg_lo:[1,0,0] neg_hi:[1,0,0]
	s_wait_dscnt 0x0
	v_pk_mul_f32 v[30:31], v[12:13], v[28:29] op_sel:[0,1] op_sel_hi:[0,0] neg_lo:[0,1]
	v_pk_mul_f32 v[34:35], v[12:13], v[10:11] op_sel:[0,1] op_sel_hi:[0,0] neg_lo:[0,1]
	v_pk_add_f32 v[8:9], v[8:9], v[18:19] neg_lo:[0,1] neg_hi:[0,1]
	v_pk_add_f32 v[18:19], v[24:25], v[20:21] neg_lo:[0,1] neg_hi:[0,1]
	v_pk_mul_f32 v[12:13], v[12:13], v[26:27] op_sel:[0,1] op_sel_hi:[0,0] neg_hi:[0,1]
	v_pk_fma_f32 v[20:21], v[28:29], v[22:23], v[30:31] op_sel_hi:[1,0,1]
	v_pk_fma_f32 v[10:11], v[10:11], v[22:23], v[34:35] op_sel_hi:[1,0,1]
	s_delay_alu instid0(VALU_DEP_3) | instskip(NEXT) | instid1(VALU_DEP_3)
	v_pk_fma_f32 v[12:13], v[26:27], v[22:23], v[12:13] op_sel_hi:[1,0,1] neg_lo:[1,0,0] neg_hi:[1,0,0]
	v_pk_add_f32 v[18:19], v[18:19], v[20:21] neg_lo:[0,1] neg_hi:[0,1]
	s_delay_alu instid0(VALU_DEP_3)
	v_pk_add_f32 v[8:9], v[8:9], v[10:11] neg_lo:[0,1] neg_hi:[0,1]
	ds_store_b64 v1, v[18:19] offset:8184
	ds_store_b64 v37, v[6:7]
	ds_store_2addr_stride64_b64 v3, v[8:9], v[12:13] offset0:3 offset1:7
.LBB49_4:
	s_or_b32 exec_lo, exec_lo, s3
	s_wait_dscnt 0x0
	s_barrier_signal -1
	s_barrier_wait -1
	s_and_saveexec_b32 s2, s1
	s_cbranch_execz .LBB49_6
; %bb.5:
	v_add_nc_u32_e32 v3, 0x1f8, v1
	v_add_nc_u32_e32 v5, -8, v1
	ds_load_2addr_stride64_b64 v[6:9], v3 offset0:3 offset1:7
	ds_load_b64 v[10:11], v5
	ds_load_b64 v[12:13], v1 offset:8184
	s_wait_dscnt 0x1
	ds_store_2addr_stride64_b64 v14, v[10:11], v[6:7] offset0:20 offset1:21
	s_wait_dscnt 0x1
	ds_store_2addr_stride64_b64 v14, v[8:9], v[12:13] offset0:22 offset1:24
.LBB49_6:
	s_or_b32 exec_lo, exec_lo, s2
	v_or_b32_e32 v5, 0x2800, v14
	v_or_b32_e32 v15, 0x2c00, v14
	v_add_nc_u32_e32 v16, 0x2a00, v14
	v_or_b32_e32 v3, 0x3000, v14
	s_wait_dscnt 0x0
	s_barrier_signal -1
	s_barrier_wait -1
                                        ; implicit-def: $vgpr8_vgpr9
                                        ; implicit-def: $vgpr10_vgpr11
                                        ; implicit-def: $vgpr6_vgpr7
                                        ; implicit-def: $vgpr12_vgpr13
	s_and_saveexec_b32 s3, s1
	s_cbranch_execz .LBB49_8
; %bb.7:
	v_sub_nc_u32_e64 v6, v0, 1 clamp
	v_min_u32_e32 v7, 63, v17
	s_delay_alu instid0(VALU_DEP_1)
	v_dual_lshlrev_b32 v17, 3, v6 :: v_dual_lshlrev_b32 v22, 3, v7
	ds_load_2addr_stride64_b64 v[6:9], v17 offset0:20 offset1:21
	ds_load_2addr_stride64_b64 v[10:13], v22 offset0:20 offset1:21
	ds_load_b64 v[26:27], v5
	ds_load_b64 v[28:29], v15
	s_wait_dscnt 0x2
	v_mul_f32_e32 v35, v13, v13
	s_delay_alu instid0(VALU_DEP_1) | instskip(NEXT) | instid1(VALU_DEP_1)
	v_dual_mul_f32 v34, v9, v9 :: v_dual_fmac_f32 v35, v12, v12
	v_fmac_f32_e32 v34, v8, v8
	s_delay_alu instid0(VALU_DEP_2) | instskip(NEXT) | instid1(VALU_DEP_2)
	v_div_scale_f32 v37, null, v35, v35, 1.0
	v_div_scale_f32 v36, null, v34, v34, 1.0
	v_div_scale_f32 v40, vcc_lo, 1.0, v34, 1.0
	s_delay_alu instid0(VALU_DEP_3) | instskip(NEXT) | instid1(VALU_DEP_2)
	v_rcp_f32_e32 v39, v37
	v_rcp_f32_e32 v38, v36
	v_div_scale_f32 v41, s2, 1.0, v35, 1.0
	s_delay_alu instid0(TRANS32_DEP_2) | instskip(NEXT) | instid1(TRANS32_DEP_1)
	v_fma_f32 v19, -v37, v39, 1.0
	v_fma_f32 v18, -v36, v38, 1.0
	s_delay_alu instid0(VALU_DEP_1)
	v_dual_fmac_f32 v39, v19, v39 :: v_dual_fmac_f32 v38, v18, v38
	ds_load_b64 v[30:31], v16
	ds_load_b64 v[32:33], v3
	ds_load_2addr_stride64_b64 v[18:21], v17 offset0:22 offset1:24
	s_wait_dscnt 0x4
	v_dual_mul_f32 v17, v9, v27 :: v_dual_mul_f32 v9, v9, -v26
	v_dual_mul_f32 v43, v41, v39 :: v_dual_mul_f32 v42, v40, v38
	s_delay_alu instid0(VALU_DEP_2) | instskip(NEXT) | instid1(VALU_DEP_2)
	v_fmac_f32_e32 v9, v27, v8
	v_dual_fma_f32 v44, -v37, v43, v41 :: v_dual_fma_f32 v23, -v36, v42, v40
	s_delay_alu instid0(VALU_DEP_1) | instskip(SKIP_4) | instid1(VALU_DEP_2)
	v_dual_fmac_f32 v43, v44, v39 :: v_dual_fmac_f32 v42, v23, v38
	ds_load_2addr_stride64_b64 v[22:25], v22 offset0:22 offset1:24
	s_wait_dscnt 0x4
	v_dual_fma_f32 v36, -v36, v42, v40 :: v_dual_mul_f32 v40, v13, -v28
	v_mul_f32_e32 v13, v13, v29
	v_div_fmas_f32 v36, v36, v38, v42
	s_delay_alu instid0(VALU_DEP_2) | instskip(SKIP_2) | instid1(VALU_DEP_3)
	v_dual_fmac_f32 v40, v29, v12 :: v_dual_fmac_f32 v13, v28, v12
	v_fma_f32 v37, -v37, v43, v41
	s_mov_b32 vcc_lo, s2
	v_div_fixup_f32 v27, v36, v34, 1.0
	v_fmac_f32_e32 v17, v26, v8
	s_delay_alu instid0(VALU_DEP_3) | instskip(NEXT) | instid1(VALU_DEP_2)
	v_div_fmas_f32 v37, v37, v39, v43
	v_dual_mul_f32 v8, v9, v27 :: v_dual_mul_f32 v26, v27, v17
	s_delay_alu instid0(VALU_DEP_2) | instskip(SKIP_1) | instid1(VALU_DEP_2)
	v_div_fixup_f32 v36, v37, v35, 1.0
	s_wait_dscnt 0x1
	v_pk_mul_f32 v[28:29], v[8:9], v[18:19] op_sel:[0,1] op_sel_hi:[0,0] neg_lo:[0,1]
	v_pk_mul_f32 v[34:35], v[8:9], v[20:21] op_sel:[0,1] op_sel_hi:[0,0] neg_lo:[0,1]
	v_pk_mul_f32 v[8:9], v[8:9], v[6:7] op_sel:[0,1] op_sel_hi:[0,0] neg_hi:[0,1]
	v_mul_f32_e32 v12, v40, v36
	v_mul_f32_e32 v36, v36, v13
	v_pk_fma_f32 v[18:19], v[18:19], v[26:27], v[28:29] op_sel_hi:[1,0,1]
	v_pk_fma_f32 v[20:21], v[20:21], v[26:27], v[34:35] op_sel_hi:[1,0,1]
	v_pk_fma_f32 v[6:7], v[6:7], v[26:27], v[8:9] op_sel_hi:[1,0,1] neg_lo:[1,0,0] neg_hi:[1,0,0]
	v_pk_mul_f32 v[38:39], v[12:13], v[10:11] op_sel:[0,1] op_sel_hi:[0,0] neg_lo:[0,1]
	s_wait_dscnt 0x0
	v_pk_mul_f32 v[40:41], v[12:13], v[24:25] op_sel:[0,1] op_sel_hi:[0,0] neg_lo:[0,1]
	v_pk_add_f32 v[18:19], v[30:31], v[18:19] neg_lo:[0,1] neg_hi:[0,1]
	v_pk_add_f32 v[20:21], v[32:33], v[20:21] neg_lo:[0,1] neg_hi:[0,1]
	v_pk_mul_f32 v[12:13], v[12:13], v[22:23] op_sel:[0,1] op_sel_hi:[0,0] neg_hi:[0,1]
	v_pk_fma_f32 v[10:11], v[10:11], v[36:37], v[38:39] op_sel_hi:[1,0,1]
	v_pk_fma_f32 v[24:25], v[24:25], v[36:37], v[40:41] op_sel_hi:[1,0,1]
	s_delay_alu instid0(VALU_DEP_3) | instskip(NEXT) | instid1(VALU_DEP_3)
	v_pk_fma_f32 v[12:13], v[22:23], v[36:37], v[12:13] op_sel_hi:[1,0,1] neg_lo:[1,0,0] neg_hi:[1,0,0]
	v_pk_add_f32 v[8:9], v[18:19], v[10:11] neg_lo:[0,1] neg_hi:[0,1]
	s_delay_alu instid0(VALU_DEP_3)
	v_pk_add_f32 v[10:11], v[20:21], v[24:25] neg_lo:[0,1] neg_hi:[0,1]
.LBB49_8:
	s_or_b32 exec_lo, exec_lo, s3
	s_barrier_signal -1
	s_barrier_wait -1
	s_and_saveexec_b32 s2, s1
	s_cbranch_execz .LBB49_10
; %bb.9:
	ds_store_b64 v5, v[6:7]
	ds_store_b64 v16, v[8:9]
	;; [unrolled: 1-line block ×4, first 2 shown]
.LBB49_10:
	s_or_b32 exec_lo, exec_lo, s2
	s_wait_dscnt 0x0
	s_barrier_signal -1
	s_barrier_wait -1
	s_and_saveexec_b32 s3, s1
	s_cbranch_execz .LBB49_12
; %bb.11:
	v_sub_nc_u32_e64 v6, v0, 2 clamp
	v_min_u32_e32 v7, 61, v0
	ds_load_b64 v[26:27], v5
	ds_load_b64 v[28:29], v15
	v_dual_lshlrev_b32 v17, 3, v6 :: v_dual_lshlrev_b32 v10, 3, v7
	ds_load_2addr_stride64_b64 v[6:9], v17 offset0:20 offset1:21
	s_wait_dscnt 0x0
	v_dual_add_nc_u32 v22, 16, v10 :: v_dual_mul_f32 v34, v9, v9
	ds_load_2addr_stride64_b64 v[10:13], v22 offset0:20 offset1:21
	ds_load_b64 v[30:31], v16
	ds_load_b64 v[32:33], v3
	s_wait_dscnt 0x2
	v_dual_fmac_f32 v34, v8, v8 :: v_dual_mul_f32 v35, v13, v13
	s_delay_alu instid0(VALU_DEP_1) | instskip(SKIP_1) | instid1(VALU_DEP_2)
	v_div_scale_f32 v36, null, v34, v34, 1.0
	v_div_scale_f32 v40, vcc_lo, 1.0, v34, 1.0
	v_rcp_f32_e32 v37, v36
	v_nop
	s_delay_alu instid0(TRANS32_DEP_1) | instskip(NEXT) | instid1(VALU_DEP_1)
	v_fma_f32 v18, -v36, v37, 1.0
	v_dual_fmac_f32 v35, v12, v12 :: v_dual_fmac_f32 v37, v18, v37
	s_delay_alu instid0(VALU_DEP_1) | instskip(SKIP_1) | instid1(VALU_DEP_2)
	v_div_scale_f32 v38, null, v35, v35, 1.0
	v_div_scale_f32 v42, s2, 1.0, v35, 1.0
	v_rcp_f32_e32 v39, v38
	v_nop
	s_delay_alu instid0(TRANS32_DEP_1) | instskip(NEXT) | instid1(VALU_DEP_1)
	v_fma_f32 v18, -v38, v39, 1.0
	v_dual_mul_f32 v41, v40, v37 :: v_dual_fmac_f32 v39, v18, v39
	s_delay_alu instid0(VALU_DEP_1) | instskip(NEXT) | instid1(VALU_DEP_1)
	v_dual_fma_f32 v18, -v36, v41, v40 :: v_dual_mul_f32 v43, v42, v39
	v_fmac_f32_e32 v41, v18, v37
	ds_load_2addr_stride64_b64 v[18:21], v17 offset0:22 offset1:24
	ds_load_2addr_stride64_b64 v[22:25], v22 offset0:22 offset1:24
	v_dual_fma_f32 v44, -v38, v43, v42 :: v_dual_fma_f32 v17, -v36, v41, v40
	s_delay_alu instid0(VALU_DEP_1) | instskip(NEXT) | instid1(VALU_DEP_2)
	v_dual_mul_f32 v36, v9, -v26 :: v_dual_fmac_f32 v43, v44, v39
	v_div_fmas_f32 v17, v17, v37, v41
	s_delay_alu instid0(VALU_DEP_2) | instskip(SKIP_2) | instid1(VALU_DEP_3)
	v_fmac_f32_e32 v36, v27, v8
	s_mov_b32 vcc_lo, s2
	v_dual_mul_f32 v37, v13, -v28 :: v_dual_mul_f32 v13, v13, v29
	v_div_fixup_f32 v17, v17, v34, 1.0
	v_mul_f32_e32 v9, v9, v27
	v_fma_f32 v27, -v38, v43, v42
	s_delay_alu instid0(VALU_DEP_2) | instskip(NEXT) | instid1(VALU_DEP_2)
	v_fmac_f32_e32 v9, v26, v8
	v_div_fmas_f32 v27, v27, v39, v43
	v_mul_f32_e32 v8, v36, v17
	v_fmac_f32_e32 v13, v28, v12
	v_fmac_f32_e32 v37, v29, v12
	v_mul_f32_e32 v12, v17, v9
	v_div_fixup_f32 v29, v27, v35, 1.0
	s_wait_dscnt 0x1
	v_pk_mul_f32 v[26:27], v[8:9], v[18:19] op_sel:[0,1] op_sel_hi:[0,0] neg_lo:[0,1]
	v_pk_mul_f32 v[34:35], v[8:9], v[20:21] op_sel:[0,1] op_sel_hi:[0,0] neg_lo:[0,1]
	v_pk_mul_f32 v[8:9], v[8:9], v[6:7] op_sel:[0,1] op_sel_hi:[0,0] neg_hi:[0,1]
	v_mul_f32_e32 v36, v29, v13
	v_mul_f32_e32 v28, v37, v29
	v_pk_fma_f32 v[18:19], v[18:19], v[12:13], v[26:27] op_sel_hi:[1,0,1]
	v_pk_fma_f32 v[20:21], v[20:21], v[12:13], v[34:35] op_sel_hi:[1,0,1]
	v_pk_fma_f32 v[6:7], v[6:7], v[12:13], v[8:9] op_sel_hi:[1,0,1] neg_lo:[1,0,0] neg_hi:[1,0,0]
	s_delay_alu instid0(VALU_DEP_4)
	v_pk_mul_f32 v[26:27], v[28:29], v[10:11] op_sel:[0,1] op_sel_hi:[0,0] neg_lo:[0,1]
	s_wait_dscnt 0x0
	v_pk_mul_f32 v[34:35], v[28:29], v[24:25] op_sel:[0,1] op_sel_hi:[0,0] neg_lo:[0,1]
	v_pk_add_f32 v[18:19], v[30:31], v[18:19] neg_lo:[0,1] neg_hi:[0,1]
	v_pk_add_f32 v[20:21], v[32:33], v[20:21] neg_lo:[0,1] neg_hi:[0,1]
	v_pk_fma_f32 v[10:11], v[10:11], v[36:37], v[26:27] op_sel_hi:[1,0,1]
	s_delay_alu instid0(VALU_DEP_4) | instskip(SKIP_1) | instid1(VALU_DEP_3)
	v_pk_fma_f32 v[24:25], v[24:25], v[36:37], v[34:35] op_sel_hi:[1,0,1]
	v_pk_mul_f32 v[26:27], v[28:29], v[22:23] op_sel:[0,1] op_sel_hi:[0,0] neg_hi:[0,1]
	v_pk_add_f32 v[8:9], v[18:19], v[10:11] neg_lo:[0,1] neg_hi:[0,1]
	s_delay_alu instid0(VALU_DEP_3) | instskip(NEXT) | instid1(VALU_DEP_3)
	v_pk_add_f32 v[10:11], v[20:21], v[24:25] neg_lo:[0,1] neg_hi:[0,1]
	v_pk_fma_f32 v[12:13], v[22:23], v[36:37], v[26:27] op_sel_hi:[1,0,1] neg_lo:[1,0,0] neg_hi:[1,0,0]
.LBB49_12:
	s_or_b32 exec_lo, exec_lo, s3
	s_barrier_signal -1
	s_barrier_wait -1
	s_and_saveexec_b32 s2, s1
	s_cbranch_execz .LBB49_14
; %bb.13:
	ds_store_b64 v5, v[6:7]
	ds_store_b64 v16, v[8:9]
	;; [unrolled: 1-line block ×4, first 2 shown]
.LBB49_14:
	s_or_b32 exec_lo, exec_lo, s2
	s_wait_dscnt 0x0
	s_barrier_signal -1
	s_barrier_wait -1
	s_and_saveexec_b32 s3, s1
	s_cbranch_execz .LBB49_16
; %bb.15:
	v_sub_nc_u32_e64 v6, v0, 4 clamp
	v_min_u32_e32 v7, 59, v0
	ds_load_b64 v[26:27], v5
	ds_load_b64 v[28:29], v15
	v_dual_lshlrev_b32 v17, 3, v6 :: v_dual_lshlrev_b32 v10, 3, v7
	ds_load_2addr_stride64_b64 v[6:9], v17 offset0:20 offset1:21
	s_wait_dscnt 0x0
	v_dual_add_nc_u32 v22, 32, v10 :: v_dual_mul_f32 v34, v9, v9
	ds_load_2addr_stride64_b64 v[10:13], v22 offset0:20 offset1:21
	ds_load_b64 v[30:31], v16
	ds_load_b64 v[32:33], v3
	s_wait_dscnt 0x2
	v_dual_fmac_f32 v34, v8, v8 :: v_dual_mul_f32 v35, v13, v13
	s_delay_alu instid0(VALU_DEP_1) | instskip(SKIP_1) | instid1(VALU_DEP_2)
	v_div_scale_f32 v36, null, v34, v34, 1.0
	v_div_scale_f32 v40, vcc_lo, 1.0, v34, 1.0
	v_rcp_f32_e32 v37, v36
	v_nop
	s_delay_alu instid0(TRANS32_DEP_1) | instskip(NEXT) | instid1(VALU_DEP_1)
	v_fma_f32 v18, -v36, v37, 1.0
	v_dual_fmac_f32 v35, v12, v12 :: v_dual_fmac_f32 v37, v18, v37
	s_delay_alu instid0(VALU_DEP_1) | instskip(SKIP_1) | instid1(VALU_DEP_2)
	v_div_scale_f32 v38, null, v35, v35, 1.0
	v_div_scale_f32 v42, s2, 1.0, v35, 1.0
	v_rcp_f32_e32 v39, v38
	v_nop
	s_delay_alu instid0(TRANS32_DEP_1) | instskip(NEXT) | instid1(VALU_DEP_1)
	v_fma_f32 v18, -v38, v39, 1.0
	v_dual_mul_f32 v41, v40, v37 :: v_dual_fmac_f32 v39, v18, v39
	s_delay_alu instid0(VALU_DEP_1) | instskip(NEXT) | instid1(VALU_DEP_1)
	v_dual_fma_f32 v18, -v36, v41, v40 :: v_dual_mul_f32 v43, v42, v39
	v_fmac_f32_e32 v41, v18, v37
	ds_load_2addr_stride64_b64 v[18:21], v17 offset0:22 offset1:24
	ds_load_2addr_stride64_b64 v[22:25], v22 offset0:22 offset1:24
	v_dual_fma_f32 v44, -v38, v43, v42 :: v_dual_fma_f32 v17, -v36, v41, v40
	s_delay_alu instid0(VALU_DEP_1) | instskip(NEXT) | instid1(VALU_DEP_2)
	v_dual_mul_f32 v36, v9, -v26 :: v_dual_fmac_f32 v43, v44, v39
	v_div_fmas_f32 v17, v17, v37, v41
	s_delay_alu instid0(VALU_DEP_2) | instskip(SKIP_2) | instid1(VALU_DEP_3)
	v_fmac_f32_e32 v36, v27, v8
	s_mov_b32 vcc_lo, s2
	v_dual_mul_f32 v37, v13, -v28 :: v_dual_mul_f32 v13, v13, v29
	v_div_fixup_f32 v17, v17, v34, 1.0
	v_mul_f32_e32 v9, v9, v27
	v_fma_f32 v27, -v38, v43, v42
	s_delay_alu instid0(VALU_DEP_2) | instskip(NEXT) | instid1(VALU_DEP_2)
	v_fmac_f32_e32 v9, v26, v8
	v_div_fmas_f32 v27, v27, v39, v43
	v_mul_f32_e32 v8, v36, v17
	v_fmac_f32_e32 v13, v28, v12
	v_fmac_f32_e32 v37, v29, v12
	v_mul_f32_e32 v12, v17, v9
	v_div_fixup_f32 v29, v27, v35, 1.0
	s_wait_dscnt 0x1
	v_pk_mul_f32 v[26:27], v[8:9], v[18:19] op_sel:[0,1] op_sel_hi:[0,0] neg_lo:[0,1]
	v_pk_mul_f32 v[34:35], v[8:9], v[20:21] op_sel:[0,1] op_sel_hi:[0,0] neg_lo:[0,1]
	v_pk_mul_f32 v[8:9], v[8:9], v[6:7] op_sel:[0,1] op_sel_hi:[0,0] neg_hi:[0,1]
	v_mul_f32_e32 v36, v29, v13
	v_mul_f32_e32 v28, v37, v29
	v_pk_fma_f32 v[18:19], v[18:19], v[12:13], v[26:27] op_sel_hi:[1,0,1]
	v_pk_fma_f32 v[20:21], v[20:21], v[12:13], v[34:35] op_sel_hi:[1,0,1]
	v_pk_fma_f32 v[6:7], v[6:7], v[12:13], v[8:9] op_sel_hi:[1,0,1] neg_lo:[1,0,0] neg_hi:[1,0,0]
	s_delay_alu instid0(VALU_DEP_4)
	v_pk_mul_f32 v[26:27], v[28:29], v[10:11] op_sel:[0,1] op_sel_hi:[0,0] neg_lo:[0,1]
	s_wait_dscnt 0x0
	v_pk_mul_f32 v[34:35], v[28:29], v[24:25] op_sel:[0,1] op_sel_hi:[0,0] neg_lo:[0,1]
	v_pk_add_f32 v[18:19], v[30:31], v[18:19] neg_lo:[0,1] neg_hi:[0,1]
	v_pk_add_f32 v[20:21], v[32:33], v[20:21] neg_lo:[0,1] neg_hi:[0,1]
	v_pk_fma_f32 v[10:11], v[10:11], v[36:37], v[26:27] op_sel_hi:[1,0,1]
	s_delay_alu instid0(VALU_DEP_4) | instskip(SKIP_1) | instid1(VALU_DEP_3)
	v_pk_fma_f32 v[24:25], v[24:25], v[36:37], v[34:35] op_sel_hi:[1,0,1]
	v_pk_mul_f32 v[26:27], v[28:29], v[22:23] op_sel:[0,1] op_sel_hi:[0,0] neg_hi:[0,1]
	v_pk_add_f32 v[8:9], v[18:19], v[10:11] neg_lo:[0,1] neg_hi:[0,1]
	s_delay_alu instid0(VALU_DEP_3) | instskip(NEXT) | instid1(VALU_DEP_3)
	v_pk_add_f32 v[10:11], v[20:21], v[24:25] neg_lo:[0,1] neg_hi:[0,1]
	v_pk_fma_f32 v[12:13], v[22:23], v[36:37], v[26:27] op_sel_hi:[1,0,1] neg_lo:[1,0,0] neg_hi:[1,0,0]
.LBB49_16:
	s_or_b32 exec_lo, exec_lo, s3
	s_barrier_signal -1
	s_barrier_wait -1
	s_and_saveexec_b32 s2, s1
	s_cbranch_execz .LBB49_18
; %bb.17:
	ds_store_b64 v5, v[6:7]
	ds_store_b64 v16, v[8:9]
	;; [unrolled: 1-line block ×4, first 2 shown]
.LBB49_18:
	s_or_b32 exec_lo, exec_lo, s2
	s_wait_dscnt 0x0
	s_barrier_signal -1
	s_barrier_wait -1
	s_and_saveexec_b32 s3, s1
	s_cbranch_execz .LBB49_20
; %bb.19:
	v_sub_nc_u32_e64 v6, v0, 8 clamp
	v_min_u32_e32 v7, 55, v0
	ds_load_b64 v[26:27], v5
	ds_load_b64 v[28:29], v15
	v_dual_lshlrev_b32 v17, 3, v6 :: v_dual_lshlrev_b32 v10, 3, v7
	ds_load_2addr_stride64_b64 v[6:9], v17 offset0:20 offset1:21
	s_wait_dscnt 0x0
	v_dual_add_nc_u32 v22, 64, v10 :: v_dual_mul_f32 v34, v9, v9
	ds_load_2addr_stride64_b64 v[10:13], v22 offset0:20 offset1:21
	ds_load_b64 v[30:31], v16
	ds_load_b64 v[32:33], v3
	s_wait_dscnt 0x2
	v_dual_fmac_f32 v34, v8, v8 :: v_dual_mul_f32 v35, v13, v13
	s_delay_alu instid0(VALU_DEP_1) | instskip(SKIP_1) | instid1(VALU_DEP_2)
	v_div_scale_f32 v36, null, v34, v34, 1.0
	v_div_scale_f32 v40, vcc_lo, 1.0, v34, 1.0
	v_rcp_f32_e32 v37, v36
	v_nop
	s_delay_alu instid0(TRANS32_DEP_1) | instskip(NEXT) | instid1(VALU_DEP_1)
	v_fma_f32 v18, -v36, v37, 1.0
	v_dual_fmac_f32 v35, v12, v12 :: v_dual_fmac_f32 v37, v18, v37
	s_delay_alu instid0(VALU_DEP_1) | instskip(SKIP_1) | instid1(VALU_DEP_2)
	v_div_scale_f32 v38, null, v35, v35, 1.0
	v_div_scale_f32 v42, s2, 1.0, v35, 1.0
	v_rcp_f32_e32 v39, v38
	v_nop
	s_delay_alu instid0(TRANS32_DEP_1) | instskip(NEXT) | instid1(VALU_DEP_1)
	v_fma_f32 v18, -v38, v39, 1.0
	v_dual_mul_f32 v41, v40, v37 :: v_dual_fmac_f32 v39, v18, v39
	s_delay_alu instid0(VALU_DEP_1) | instskip(NEXT) | instid1(VALU_DEP_1)
	v_dual_fma_f32 v18, -v36, v41, v40 :: v_dual_mul_f32 v43, v42, v39
	v_fmac_f32_e32 v41, v18, v37
	ds_load_2addr_stride64_b64 v[18:21], v17 offset0:22 offset1:24
	ds_load_2addr_stride64_b64 v[22:25], v22 offset0:22 offset1:24
	v_dual_fma_f32 v44, -v38, v43, v42 :: v_dual_fma_f32 v17, -v36, v41, v40
	s_delay_alu instid0(VALU_DEP_1) | instskip(NEXT) | instid1(VALU_DEP_2)
	v_dual_mul_f32 v36, v9, -v26 :: v_dual_fmac_f32 v43, v44, v39
	v_div_fmas_f32 v17, v17, v37, v41
	s_delay_alu instid0(VALU_DEP_2) | instskip(SKIP_2) | instid1(VALU_DEP_3)
	v_fmac_f32_e32 v36, v27, v8
	s_mov_b32 vcc_lo, s2
	v_dual_mul_f32 v37, v13, -v28 :: v_dual_mul_f32 v13, v13, v29
	v_div_fixup_f32 v17, v17, v34, 1.0
	v_mul_f32_e32 v9, v9, v27
	v_fma_f32 v27, -v38, v43, v42
	s_delay_alu instid0(VALU_DEP_2) | instskip(NEXT) | instid1(VALU_DEP_2)
	v_fmac_f32_e32 v9, v26, v8
	v_div_fmas_f32 v27, v27, v39, v43
	v_mul_f32_e32 v8, v36, v17
	v_fmac_f32_e32 v13, v28, v12
	v_fmac_f32_e32 v37, v29, v12
	v_mul_f32_e32 v12, v17, v9
	v_div_fixup_f32 v29, v27, v35, 1.0
	s_wait_dscnt 0x1
	v_pk_mul_f32 v[26:27], v[8:9], v[18:19] op_sel:[0,1] op_sel_hi:[0,0] neg_lo:[0,1]
	v_pk_mul_f32 v[34:35], v[8:9], v[20:21] op_sel:[0,1] op_sel_hi:[0,0] neg_lo:[0,1]
	v_pk_mul_f32 v[8:9], v[8:9], v[6:7] op_sel:[0,1] op_sel_hi:[0,0] neg_hi:[0,1]
	v_mul_f32_e32 v36, v29, v13
	v_mul_f32_e32 v28, v37, v29
	v_pk_fma_f32 v[18:19], v[18:19], v[12:13], v[26:27] op_sel_hi:[1,0,1]
	v_pk_fma_f32 v[20:21], v[20:21], v[12:13], v[34:35] op_sel_hi:[1,0,1]
	v_pk_fma_f32 v[6:7], v[6:7], v[12:13], v[8:9] op_sel_hi:[1,0,1] neg_lo:[1,0,0] neg_hi:[1,0,0]
	s_delay_alu instid0(VALU_DEP_4)
	v_pk_mul_f32 v[26:27], v[28:29], v[10:11] op_sel:[0,1] op_sel_hi:[0,0] neg_lo:[0,1]
	s_wait_dscnt 0x0
	v_pk_mul_f32 v[34:35], v[28:29], v[24:25] op_sel:[0,1] op_sel_hi:[0,0] neg_lo:[0,1]
	v_pk_add_f32 v[18:19], v[30:31], v[18:19] neg_lo:[0,1] neg_hi:[0,1]
	v_pk_add_f32 v[20:21], v[32:33], v[20:21] neg_lo:[0,1] neg_hi:[0,1]
	v_pk_fma_f32 v[10:11], v[10:11], v[36:37], v[26:27] op_sel_hi:[1,0,1]
	s_delay_alu instid0(VALU_DEP_4) | instskip(SKIP_1) | instid1(VALU_DEP_3)
	v_pk_fma_f32 v[24:25], v[24:25], v[36:37], v[34:35] op_sel_hi:[1,0,1]
	v_pk_mul_f32 v[26:27], v[28:29], v[22:23] op_sel:[0,1] op_sel_hi:[0,0] neg_hi:[0,1]
	v_pk_add_f32 v[8:9], v[18:19], v[10:11] neg_lo:[0,1] neg_hi:[0,1]
	s_delay_alu instid0(VALU_DEP_3) | instskip(NEXT) | instid1(VALU_DEP_3)
	v_pk_add_f32 v[10:11], v[20:21], v[24:25] neg_lo:[0,1] neg_hi:[0,1]
	v_pk_fma_f32 v[12:13], v[22:23], v[36:37], v[26:27] op_sel_hi:[1,0,1] neg_lo:[1,0,0] neg_hi:[1,0,0]
.LBB49_20:
	s_or_b32 exec_lo, exec_lo, s3
	s_barrier_signal -1
	s_barrier_wait -1
	s_and_saveexec_b32 s2, s1
	s_cbranch_execz .LBB49_22
; %bb.21:
	ds_store_b64 v5, v[6:7]
	ds_store_b64 v16, v[8:9]
	;; [unrolled: 1-line block ×4, first 2 shown]
.LBB49_22:
	s_or_b32 exec_lo, exec_lo, s2
	s_wait_dscnt 0x0
	s_barrier_signal -1
	s_barrier_wait -1
	s_and_saveexec_b32 s3, s1
	s_cbranch_execz .LBB49_24
; %bb.23:
	v_sub_nc_u32_e64 v6, v0, 16 clamp
	v_min_u32_e32 v7, 47, v0
	ds_load_b64 v[26:27], v5
	ds_load_b64 v[28:29], v15
	v_dual_lshlrev_b32 v17, 3, v6 :: v_dual_lshlrev_b32 v10, 3, v7
	ds_load_2addr_stride64_b64 v[6:9], v17 offset0:20 offset1:21
	v_add_nc_u32_e32 v22, 0x80, v10
	ds_load_2addr_stride64_b64 v[10:13], v22 offset0:20 offset1:21
	ds_load_b64 v[30:31], v16
	ds_load_b64 v[32:33], v3
	s_wait_dscnt 0x2
	v_mul_f32_e32 v35, v13, v13
	s_delay_alu instid0(VALU_DEP_1) | instskip(NEXT) | instid1(VALU_DEP_1)
	v_dual_mul_f32 v34, v9, v9 :: v_dual_fmac_f32 v35, v12, v12
	v_fmac_f32_e32 v34, v8, v8
	s_delay_alu instid0(VALU_DEP_2) | instskip(NEXT) | instid1(VALU_DEP_2)
	v_div_scale_f32 v38, null, v35, v35, 1.0
	v_div_scale_f32 v36, null, v34, v34, 1.0
	v_div_scale_f32 v42, s2, 1.0, v35, 1.0
	s_delay_alu instid0(VALU_DEP_3) | instskip(NEXT) | instid1(VALU_DEP_2)
	v_rcp_f32_e32 v39, v38
	v_rcp_f32_e32 v37, v36
	v_nop
	s_delay_alu instid0(TRANS32_DEP_1) | instskip(NEXT) | instid1(VALU_DEP_1)
	v_fma_f32 v18, -v36, v37, 1.0
	v_fmac_f32_e32 v37, v18, v37
	v_div_scale_f32 v40, vcc_lo, 1.0, v34, 1.0
	s_delay_alu instid0(TRANS32_DEP_2) | instskip(NEXT) | instid1(VALU_DEP_1)
	v_fma_f32 v18, -v38, v39, 1.0
	v_dual_mul_f32 v41, v40, v37 :: v_dual_fmac_f32 v39, v18, v39
	s_delay_alu instid0(VALU_DEP_1) | instskip(NEXT) | instid1(VALU_DEP_1)
	v_dual_fma_f32 v18, -v36, v41, v40 :: v_dual_mul_f32 v43, v42, v39
	v_fmac_f32_e32 v41, v18, v37
	ds_load_2addr_stride64_b64 v[18:21], v17 offset0:22 offset1:24
	ds_load_2addr_stride64_b64 v[22:25], v22 offset0:22 offset1:24
	v_dual_fma_f32 v44, -v38, v43, v42 :: v_dual_fma_f32 v17, -v36, v41, v40
	s_delay_alu instid0(VALU_DEP_1) | instskip(NEXT) | instid1(VALU_DEP_2)
	v_dual_mul_f32 v36, v9, -v26 :: v_dual_fmac_f32 v43, v44, v39
	v_div_fmas_f32 v17, v17, v37, v41
	s_delay_alu instid0(VALU_DEP_2) | instskip(SKIP_2) | instid1(VALU_DEP_3)
	v_fmac_f32_e32 v36, v27, v8
	s_mov_b32 vcc_lo, s2
	v_dual_mul_f32 v37, v13, -v28 :: v_dual_mul_f32 v13, v13, v29
	v_div_fixup_f32 v17, v17, v34, 1.0
	v_mul_f32_e32 v9, v9, v27
	v_fma_f32 v27, -v38, v43, v42
	s_delay_alu instid0(VALU_DEP_2) | instskip(NEXT) | instid1(VALU_DEP_2)
	v_fmac_f32_e32 v9, v26, v8
	v_div_fmas_f32 v27, v27, v39, v43
	v_mul_f32_e32 v8, v36, v17
	v_fmac_f32_e32 v13, v28, v12
	v_fmac_f32_e32 v37, v29, v12
	v_mul_f32_e32 v12, v17, v9
	v_div_fixup_f32 v29, v27, v35, 1.0
	s_wait_dscnt 0x1
	v_pk_mul_f32 v[26:27], v[8:9], v[18:19] op_sel:[0,1] op_sel_hi:[0,0] neg_lo:[0,1]
	v_pk_mul_f32 v[34:35], v[8:9], v[20:21] op_sel:[0,1] op_sel_hi:[0,0] neg_lo:[0,1]
	v_pk_mul_f32 v[8:9], v[8:9], v[6:7] op_sel:[0,1] op_sel_hi:[0,0] neg_hi:[0,1]
	v_mul_f32_e32 v36, v29, v13
	v_mul_f32_e32 v28, v37, v29
	v_pk_fma_f32 v[18:19], v[18:19], v[12:13], v[26:27] op_sel_hi:[1,0,1]
	v_pk_fma_f32 v[20:21], v[20:21], v[12:13], v[34:35] op_sel_hi:[1,0,1]
	v_pk_fma_f32 v[6:7], v[6:7], v[12:13], v[8:9] op_sel_hi:[1,0,1] neg_lo:[1,0,0] neg_hi:[1,0,0]
	s_delay_alu instid0(VALU_DEP_4)
	v_pk_mul_f32 v[26:27], v[28:29], v[10:11] op_sel:[0,1] op_sel_hi:[0,0] neg_lo:[0,1]
	s_wait_dscnt 0x0
	v_pk_mul_f32 v[34:35], v[28:29], v[24:25] op_sel:[0,1] op_sel_hi:[0,0] neg_lo:[0,1]
	v_pk_add_f32 v[18:19], v[30:31], v[18:19] neg_lo:[0,1] neg_hi:[0,1]
	v_pk_add_f32 v[20:21], v[32:33], v[20:21] neg_lo:[0,1] neg_hi:[0,1]
	v_pk_fma_f32 v[10:11], v[10:11], v[36:37], v[26:27] op_sel_hi:[1,0,1]
	s_delay_alu instid0(VALU_DEP_4) | instskip(SKIP_1) | instid1(VALU_DEP_3)
	v_pk_fma_f32 v[24:25], v[24:25], v[36:37], v[34:35] op_sel_hi:[1,0,1]
	v_pk_mul_f32 v[26:27], v[28:29], v[22:23] op_sel:[0,1] op_sel_hi:[0,0] neg_hi:[0,1]
	v_pk_add_f32 v[8:9], v[18:19], v[10:11] neg_lo:[0,1] neg_hi:[0,1]
	s_delay_alu instid0(VALU_DEP_3) | instskip(NEXT) | instid1(VALU_DEP_3)
	v_pk_add_f32 v[10:11], v[20:21], v[24:25] neg_lo:[0,1] neg_hi:[0,1]
	v_pk_fma_f32 v[12:13], v[22:23], v[36:37], v[26:27] op_sel_hi:[1,0,1] neg_lo:[1,0,0] neg_hi:[1,0,0]
.LBB49_24:
	s_or_b32 exec_lo, exec_lo, s3
	s_barrier_signal -1
	s_barrier_wait -1
	s_and_saveexec_b32 s2, s1
	s_cbranch_execz .LBB49_26
; %bb.25:
	ds_store_b64 v5, v[6:7]
	ds_store_b64 v16, v[8:9]
	;; [unrolled: 1-line block ×4, first 2 shown]
.LBB49_26:
	s_or_b32 exec_lo, exec_lo, s2
	s_delay_alu instid0(SALU_CYCLE_1)
	s_mov_b32 s2, exec_lo
	s_wait_dscnt 0x0
	s_barrier_signal -1
	s_barrier_wait -1
	v_cmpx_gt_u32_e32 32, v0
	s_cbranch_execz .LBB49_28
; %bb.27:
	ds_load_2addr_b64 v[6:9], v16 offset1:32
	ds_load_b64 v[10:11], v15
	ds_load_b32 v12, v3
	ds_load_b64 v[16:17], v3
	ds_load_b64 v[18:19], v5 offset:256
	s_wait_dscnt 0x4
	v_pk_mul_f32 v[20:21], v[6:7], v[8:9] op_sel:[1,1] op_sel_hi:[1,0] neg_lo:[0,1]
	s_wait_dscnt 0x0
	v_pk_mul_f32 v[22:23], v[18:19], v[10:11] op_sel:[1,1] op_sel_hi:[1,0] neg_lo:[0,1]
	s_delay_alu instid0(VALU_DEP_2) | instskip(SKIP_1) | instid1(VALU_DEP_3)
	v_pk_fma_f32 v[20:21], v[8:9], v[6:7], v[20:21] op_sel_hi:[1,0,1]
	v_pk_mul_f32 v[32:33], v[18:19], v[16:17] op_sel:[1,1] op_sel_hi:[1,0] neg_lo:[0,1]
	v_pk_fma_f32 v[22:23], v[10:11], v[18:19], v[22:23] op_sel_hi:[1,0,1]
	s_delay_alu instid0(VALU_DEP_1) | instskip(SKIP_4) | instid1(VALU_DEP_1)
	v_pk_add_f32 v[20:21], v[20:21], v[22:23] neg_lo:[0,1] neg_hi:[0,1]
	ds_load_2addr_b32 v[22:23], v3 offset0:1 offset1:64
	ds_load_b32 v24, v3 offset:260
	ds_load_b64 v[26:27], v3 offset:256
	v_mul_f32_e32 v5, v21, v21
	v_fmac_f32_e32 v5, v20, v20
	s_delay_alu instid0(VALU_DEP_1) | instskip(SKIP_2) | instid1(VALU_DEP_2)
	v_div_scale_f32 v13, null, v5, v5, 1.0
	s_wait_dscnt 0x2
	v_pk_mul_f32 v[28:29], v[22:23], v[8:9] op_sel:[0,1] op_sel_hi:[0,0] neg_lo:[0,1]
	v_rcp_f32_e32 v15, v13
	v_mov_b32_e32 v22, v23
	s_delay_alu instid0(TRANS32_DEP_1) | instskip(NEXT) | instid1(VALU_DEP_1)
	v_fma_f32 v25, -v13, v15, 1.0
	v_fmac_f32_e32 v15, v25, v15
	v_div_scale_f32 v30, vcc_lo, 1.0, v5, 1.0
	s_delay_alu instid0(VALU_DEP_1) | instskip(NEXT) | instid1(VALU_DEP_1)
	v_mul_f32_e32 v3, v30, v15
	v_fma_f32 v25, -v13, v3, v30
	s_delay_alu instid0(VALU_DEP_1) | instskip(SKIP_2) | instid1(VALU_DEP_2)
	v_fmac_f32_e32 v3, v25, v15
	s_wait_dscnt 0x1
	v_pk_mul_f32 v[24:25], v[24:25], v[10:11] op_sel:[0,1] op_sel_hi:[0,0] neg_lo:[0,1]
	v_fma_f32 v13, -v13, v3, v30
	s_wait_dscnt 0x0
	v_pk_mul_f32 v[30:31], v[6:7], v[26:27] op_sel:[1,1] op_sel_hi:[1,0] neg_lo:[0,1]
	s_delay_alu instid0(VALU_DEP_3) | instskip(NEXT) | instid1(VALU_DEP_3)
	v_pk_fma_f32 v[10:11], v[10:11], v[22:23], v[24:25] op_sel_hi:[1,0,1]
	v_div_fmas_f32 v3, v13, v15, v3
	v_pk_fma_f32 v[8:9], v[8:9], v[12:13], v[28:29] op_sel_hi:[1,0,1]
	s_delay_alu instid0(VALU_DEP_4)
	v_pk_fma_f32 v[6:7], v[26:27], v[6:7], v[30:31] op_sel_hi:[1,0,1]
	v_fma_f32 v15, v20, 0, -v21
	v_pk_fma_f32 v[12:13], v[16:17], v[18:19], v[32:33] op_sel_hi:[1,0,1]
	v_div_fixup_f32 v3, v3, v5, 1.0
	v_pk_add_f32 v[8:9], v[8:9], v[10:11] neg_lo:[0,1] neg_hi:[0,1]
	v_fma_f32 v5, 0, v21, v20
	s_delay_alu instid0(VALU_DEP_4) | instskip(NEXT) | instid1(VALU_DEP_2)
	v_pk_add_f32 v[6:7], v[6:7], v[12:13] neg_lo:[0,1] neg_hi:[0,1]
	v_dual_mul_f32 v10, v15, v3 :: v_dual_mul_f32 v12, v5, v3
	v_add_nc_u32_e32 v3, 0x2800, v14
	s_delay_alu instid0(VALU_DEP_2) | instskip(NEXT) | instid1(VALU_DEP_4)
	v_pk_mul_f32 v[16:17], v[10:11], v[8:9] op_sel:[0,1] op_sel_hi:[0,0] neg_lo:[0,1]
	v_pk_mul_f32 v[10:11], v[10:11], v[6:7] op_sel:[0,1] op_sel_hi:[0,0] neg_lo:[0,1]
	s_delay_alu instid0(VALU_DEP_2) | instskip(NEXT) | instid1(VALU_DEP_2)
	v_pk_fma_f32 v[8:9], v[8:9], v[12:13], v[16:17] op_sel_hi:[1,0,1]
	v_pk_fma_f32 v[6:7], v[6:7], v[12:13], v[10:11] op_sel_hi:[1,0,1]
	ds_store_2addr_b64 v3, v[8:9], v[6:7] offset0:192 offset1:224
.LBB49_28:
	s_or_b32 exec_lo, exec_lo, s2
	v_dual_ashrrev_i32 v3, 31, v2 :: v_dual_mov_b32 v5, 0
	s_wait_dscnt 0x0
	s_barrier_signal -1
	s_barrier_wait -1
	s_and_saveexec_b32 s2, s1
	s_cbranch_execz .LBB49_30
; %bb.29:
	ds_load_b64 v[6:7], v14 offset:11776
	s_wait_dscnt 0x0
	ds_store_b64 v1, v[6:7] offset:6136
.LBB49_30:
	s_or_b32 exec_lo, exec_lo, s2
	s_wait_dscnt 0x0
	s_barrier_signal -1
	s_barrier_wait -1
	s_and_saveexec_b32 s2, s1
	s_cbranch_execz .LBB49_36
; %bb.31:
	v_lshlrev_b32_e32 v1, 2, v0
	v_lshl_or_b32 v8, v0, 5, 0x2000
	s_mov_b32 s1, exec_lo
                                        ; implicit-def: $vgpr6_vgpr7
	s_delay_alu instid0(VALU_DEP_2)
	v_lshlrev_b32_e32 v1, 3, v1
	v_cmpx_ne_u32_e32 0, v0
	s_xor_b32 s1, exec_lo, s1
	s_cbranch_execz .LBB49_33
; %bb.32:
	s_delay_alu instid0(VALU_DEP_2)
	v_add_nc_u32_e32 v6, 8, v1
	ds_load_b64 v[8:9], v8 offset:8
	ds_load_2addr_stride64_b64 v[10:13], v6 offset1:4
	v_add_nc_u32_e32 v6, 0x1000, v1
	ds_load_2addr_b64 v[16:19], v6 offset0:1 offset1:255
	ds_load_b64 v[6:7], v1 offset:6168
	s_wait_dscnt 0x2
	v_mul_f32_e32 v15, v13, v13
	s_delay_alu instid0(VALU_DEP_1) | instskip(SKIP_2) | instid1(VALU_DEP_2)
	v_fmac_f32_e32 v15, v12, v12
	s_wait_dscnt 0x0
	v_pk_mul_f32 v[22:23], v[6:7], v[16:17] op_sel:[1,1] op_sel_hi:[1,0] neg_lo:[0,1]
	v_div_scale_f32 v24, null, v15, v15, 1.0
	v_div_scale_f32 v26, vcc_lo, 1.0, v15, 1.0
	s_delay_alu instid0(VALU_DEP_3) | instskip(NEXT) | instid1(VALU_DEP_3)
	v_pk_fma_f32 v[6:7], v[16:17], v[6:7], v[22:23] op_sel_hi:[1,0,1]
	v_rcp_f32_e32 v25, v24
	v_nop
	s_delay_alu instid0(TRANS32_DEP_1) | instskip(NEXT) | instid1(VALU_DEP_1)
	v_fma_f32 v20, -v24, v25, 1.0
	v_fmac_f32_e32 v25, v20, v25
	v_pk_mul_f32 v[20:21], v[18:19], v[10:11] op_sel:[1,1] op_sel_hi:[1,0] neg_lo:[0,1]
	s_delay_alu instid0(VALU_DEP_2) | instskip(NEXT) | instid1(VALU_DEP_2)
	v_mul_f32_e32 v27, v26, v25
	v_pk_fma_f32 v[10:11], v[10:11], v[18:19], v[20:21] op_sel_hi:[1,0,1]
	s_delay_alu instid0(VALU_DEP_2) | instskip(NEXT) | instid1(VALU_DEP_2)
	v_fma_f32 v28, -v24, v27, v26
	v_pk_add_f32 v[8:9], v[8:9], v[10:11] neg_lo:[0,1] neg_hi:[0,1]
	s_delay_alu instid0(VALU_DEP_2) | instskip(NEXT) | instid1(VALU_DEP_2)
	v_fmac_f32_e32 v27, v28, v25
	v_pk_add_f32 v[6:7], v[8:9], v[6:7] neg_lo:[0,1] neg_hi:[0,1]
	s_delay_alu instid0(VALU_DEP_2) | instskip(NEXT) | instid1(VALU_DEP_2)
	v_fma_f32 v10, -v24, v27, v26
	v_pk_mul_f32 v[8:9], v[12:13], v[6:7] op_sel:[1,1] op_sel_hi:[1,0] neg_hi:[0,1]
	s_delay_alu instid0(VALU_DEP_2) | instskip(NEXT) | instid1(VALU_DEP_2)
	v_div_fmas_f32 v10, v10, v25, v27
	v_pk_fma_f32 v[6:7], v[6:7], v[12:13], v[8:9] op_sel_hi:[1,0,1]
                                        ; implicit-def: $vgpr8
	s_delay_alu instid0(VALU_DEP_2) | instskip(NEXT) | instid1(VALU_DEP_1)
	v_div_fixup_f32 v10, v10, v15, 1.0
	v_pk_mul_f32 v[6:7], v[10:11], v[6:7] op_sel_hi:[0,1]
.LBB49_33:
	s_and_not1_saveexec_b32 s1, s1
	s_cbranch_execz .LBB49_35
; %bb.34:
	v_add_nc_u32_e32 v6, 8, v1
	ds_load_2addr_stride64_b64 v[10:13], v6 offset0:4 offset1:8
	ds_load_b64 v[6:7], v1 offset:6168
	s_wait_dscnt 0x1
	v_mul_f32_e32 v15, v11, v11
	s_delay_alu instid0(VALU_DEP_1) | instskip(NEXT) | instid1(VALU_DEP_1)
	v_fmac_f32_e32 v15, v10, v10
	v_div_scale_f32 v18, null, v15, v15, 1.0
	v_div_scale_f32 v20, vcc_lo, 1.0, v15, 1.0
	s_delay_alu instid0(VALU_DEP_2) | instskip(SKIP_1) | instid1(TRANS32_DEP_1)
	v_rcp_f32_e32 v19, v18
	v_nop
	v_fma_f32 v9, -v18, v19, 1.0
	s_delay_alu instid0(VALU_DEP_1) | instskip(SKIP_4) | instid1(VALU_DEP_2)
	v_fmac_f32_e32 v19, v9, v19
	ds_load_b64 v[8:9], v8 offset:8
	s_wait_dscnt 0x1
	v_pk_mul_f32 v[16:17], v[6:7], v[12:13] op_sel:[1,1] op_sel_hi:[1,0] neg_lo:[0,1]
	v_mul_f32_e32 v21, v20, v19
	v_pk_fma_f32 v[6:7], v[12:13], v[6:7], v[16:17] op_sel_hi:[1,0,1]
	s_delay_alu instid0(VALU_DEP_2) | instskip(NEXT) | instid1(VALU_DEP_1)
	v_fma_f32 v22, -v18, v21, v20
	v_fmac_f32_e32 v21, v22, v19
	s_delay_alu instid0(VALU_DEP_1) | instskip(SKIP_2) | instid1(VALU_DEP_2)
	v_fma_f32 v12, -v18, v21, v20
	s_wait_dscnt 0x0
	v_pk_add_f32 v[6:7], v[8:9], v[6:7] neg_lo:[0,1] neg_hi:[0,1]
	v_div_fmas_f32 v12, v12, v19, v21
	s_delay_alu instid0(VALU_DEP_2) | instskip(NEXT) | instid1(VALU_DEP_2)
	v_pk_mul_f32 v[8:9], v[10:11], v[6:7] op_sel:[1,1] op_sel_hi:[1,0] neg_hi:[0,1]
	v_div_fixup_f32 v12, v12, v15, 1.0
	s_delay_alu instid0(VALU_DEP_2) | instskip(NEXT) | instid1(VALU_DEP_1)
	v_pk_fma_f32 v[6:7], v[6:7], v[10:11], v[8:9] op_sel_hi:[1,0,1]
	v_pk_mul_f32 v[6:7], v[12:13], v[6:7] op_sel_hi:[0,1]
.LBB49_35:
	s_or_b32 exec_lo, exec_lo, s1
	ds_store_b64 v1, v[6:7] offset:6152
.LBB49_36:
	s_or_b32 exec_lo, exec_lo, s2
	v_lshl_add_u64 v[2:3], v[2:3], 3, s[10:11]
	v_lshl_add_u64 v[4:5], v[4:5], 3, s[10:11]
	s_wait_dscnt 0x0
	s_barrier_signal -1
	s_barrier_wait -1
	s_and_saveexec_b32 s1, s0
	s_cbranch_execz .LBB49_42
; %bb.37:
	v_lshlrev_b32_e32 v1, 1, v0
	v_cmp_ne_u32_e32 vcc_lo, 0, v0
	v_lshl_or_b32 v7, v0, 4, 0x2000
	s_delay_alu instid0(VALU_DEP_3) | instskip(SKIP_1) | instid1(SALU_CYCLE_1)
	v_lshlrev_b32_e32 v6, 3, v1
                                        ; implicit-def: $vgpr0_vgpr1
	s_and_saveexec_b32 s0, vcc_lo
	s_xor_b32 s0, exec_lo, s0
	s_cbranch_execz .LBB49_39
; %bb.38:
	ds_load_2addr_stride64_b64 v[8:11], v6 offset1:4
	v_add_nc_u32_e32 v0, 0x1000, v6
	ds_load_b64 v[12:13], v7
	ds_load_2addr_b64 v[16:19], v0 offset1:255
	ds_load_b64 v[0:1], v6 offset:6152
	s_wait_dscnt 0x3
	v_mul_f32_e32 v15, v11, v11
	s_delay_alu instid0(VALU_DEP_1) | instskip(SKIP_2) | instid1(VALU_DEP_2)
	v_fmac_f32_e32 v15, v10, v10
	s_wait_dscnt 0x0
	v_pk_mul_f32 v[22:23], v[0:1], v[16:17] op_sel:[1,1] op_sel_hi:[1,0] neg_lo:[0,1]
	v_div_scale_f32 v24, null, v15, v15, 1.0
	s_delay_alu instid0(VALU_DEP_2) | instskip(NEXT) | instid1(VALU_DEP_2)
	v_pk_fma_f32 v[0:1], v[16:17], v[0:1], v[22:23] op_sel_hi:[1,0,1]
	v_rcp_f32_e32 v25, v24
	v_nop
	s_delay_alu instid0(TRANS32_DEP_1) | instskip(NEXT) | instid1(VALU_DEP_1)
	v_fma_f32 v20, -v24, v25, 1.0
	v_fmac_f32_e32 v25, v20, v25
	v_div_scale_f32 v7, vcc_lo, 1.0, v15, 1.0
	v_pk_mul_f32 v[20:21], v[18:19], v[8:9] op_sel:[1,1] op_sel_hi:[1,0] neg_lo:[0,1]
	s_delay_alu instid0(VALU_DEP_2) | instskip(NEXT) | instid1(VALU_DEP_2)
	v_mul_f32_e32 v26, v7, v25
	v_pk_fma_f32 v[8:9], v[8:9], v[18:19], v[20:21] op_sel_hi:[1,0,1]
	s_delay_alu instid0(VALU_DEP_2) | instskip(NEXT) | instid1(VALU_DEP_2)
	v_fma_f32 v27, -v24, v26, v7
	v_pk_add_f32 v[8:9], v[12:13], v[8:9] neg_lo:[0,1] neg_hi:[0,1]
	s_delay_alu instid0(VALU_DEP_2) | instskip(NEXT) | instid1(VALU_DEP_2)
	v_fmac_f32_e32 v26, v27, v25
	v_pk_add_f32 v[0:1], v[8:9], v[0:1] neg_lo:[0,1] neg_hi:[0,1]
	s_delay_alu instid0(VALU_DEP_2) | instskip(NEXT) | instid1(VALU_DEP_2)
	v_fma_f32 v7, -v24, v26, v7
	v_pk_mul_f32 v[8:9], v[10:11], v[0:1] op_sel:[1,1] op_sel_hi:[1,0] neg_hi:[0,1]
	s_delay_alu instid0(VALU_DEP_2) | instskip(NEXT) | instid1(VALU_DEP_2)
	v_div_fmas_f32 v7, v7, v25, v26
	v_pk_fma_f32 v[0:1], v[0:1], v[10:11], v[8:9] op_sel_hi:[1,0,1]
	s_delay_alu instid0(VALU_DEP_2) | instskip(NEXT) | instid1(VALU_DEP_1)
	v_div_fixup_f32 v12, v7, v15, 1.0
                                        ; implicit-def: $vgpr7
	v_pk_mul_f32 v[0:1], v[12:13], v[0:1] op_sel_hi:[0,1]
.LBB49_39:
	s_and_not1_saveexec_b32 s0, s0
	s_cbranch_execz .LBB49_41
; %bb.40:
	ds_load_2addr_stride64_b64 v[8:11], v6 offset0:4 offset1:8
	ds_load_b64 v[0:1], v6 offset:6152
	s_wait_dscnt 0x1
	v_mul_f32_e32 v15, v9, v9
	s_delay_alu instid0(VALU_DEP_1) | instskip(NEXT) | instid1(VALU_DEP_1)
	v_fmac_f32_e32 v15, v8, v8
	v_div_scale_f32 v18, null, v15, v15, 1.0
	v_div_scale_f32 v20, vcc_lo, 1.0, v15, 1.0
	s_delay_alu instid0(VALU_DEP_2) | instskip(SKIP_1) | instid1(TRANS32_DEP_1)
	v_rcp_f32_e32 v19, v18
	v_nop
	v_fma_f32 v12, -v18, v19, 1.0
	s_delay_alu instid0(VALU_DEP_1) | instskip(SKIP_4) | instid1(VALU_DEP_2)
	v_fmac_f32_e32 v19, v12, v19
	ds_load_b64 v[12:13], v7
	s_wait_dscnt 0x1
	v_pk_mul_f32 v[16:17], v[0:1], v[10:11] op_sel:[1,1] op_sel_hi:[1,0] neg_lo:[0,1]
	v_mul_f32_e32 v7, v20, v19
	v_pk_fma_f32 v[0:1], v[10:11], v[0:1], v[16:17] op_sel_hi:[1,0,1]
	s_delay_alu instid0(VALU_DEP_2) | instskip(NEXT) | instid1(VALU_DEP_1)
	v_fma_f32 v21, -v18, v7, v20
	v_fmac_f32_e32 v7, v21, v19
	s_delay_alu instid0(VALU_DEP_1) | instskip(SKIP_2) | instid1(VALU_DEP_2)
	v_fma_f32 v10, -v18, v7, v20
	s_wait_dscnt 0x0
	v_pk_add_f32 v[0:1], v[12:13], v[0:1] neg_lo:[0,1] neg_hi:[0,1]
	v_div_fmas_f32 v7, v10, v19, v7
	s_delay_alu instid0(VALU_DEP_2) | instskip(NEXT) | instid1(VALU_DEP_2)
	v_pk_mul_f32 v[10:11], v[8:9], v[0:1] op_sel:[1,1] op_sel_hi:[1,0] neg_hi:[0,1]
	v_div_fixup_f32 v12, v7, v15, 1.0
	s_delay_alu instid0(VALU_DEP_2) | instskip(NEXT) | instid1(VALU_DEP_1)
	v_pk_fma_f32 v[0:1], v[0:1], v[8:9], v[10:11] op_sel_hi:[1,0,1]
	v_pk_mul_f32 v[0:1], v[12:13], v[0:1] op_sel_hi:[0,1]
.LBB49_41:
	s_or_b32 exec_lo, exec_lo, s0
	ds_store_b64 v6, v[0:1] offset:6144
.LBB49_42:
	s_or_b32 exec_lo, exec_lo, s1
	s_wait_dscnt 0x0
	s_barrier_signal -1
	s_barrier_wait -1
	ds_load_2addr_stride64_b64 v[6:9], v14 offset0:12 offset1:14
	s_wait_dscnt 0x0
	s_clause 0x1
	global_store_b64 v[2:3], v[6:7], off
	global_store_b64 v[4:5], v[8:9], off
	s_endpgm
	.section	.rodata,"a",@progbits
	.p2align	6, 0x0
	.amdhsa_kernel _ZN9rocsparseL51gtsv_nopivot_strided_batch_crpcr_pow2_shared_kernelILj128ELj64E21rocsparse_complex_numIfEEEviiiPKT1_S5_S5_PS3_
		.amdhsa_group_segment_fixed_size 12800
		.amdhsa_private_segment_fixed_size 0
		.amdhsa_kernarg_size 48
		.amdhsa_user_sgpr_count 2
		.amdhsa_user_sgpr_dispatch_ptr 0
		.amdhsa_user_sgpr_queue_ptr 0
		.amdhsa_user_sgpr_kernarg_segment_ptr 1
		.amdhsa_user_sgpr_dispatch_id 0
		.amdhsa_user_sgpr_kernarg_preload_length 0
		.amdhsa_user_sgpr_kernarg_preload_offset 0
		.amdhsa_user_sgpr_private_segment_size 0
		.amdhsa_wavefront_size32 1
		.amdhsa_uses_dynamic_stack 0
		.amdhsa_enable_private_segment 0
		.amdhsa_system_sgpr_workgroup_id_x 1
		.amdhsa_system_sgpr_workgroup_id_y 0
		.amdhsa_system_sgpr_workgroup_id_z 0
		.amdhsa_system_sgpr_workgroup_info 0
		.amdhsa_system_vgpr_workitem_id 0
		.amdhsa_next_free_vgpr 45
		.amdhsa_next_free_sgpr 13
		.amdhsa_named_barrier_count 0
		.amdhsa_reserve_vcc 1
		.amdhsa_float_round_mode_32 0
		.amdhsa_float_round_mode_16_64 0
		.amdhsa_float_denorm_mode_32 3
		.amdhsa_float_denorm_mode_16_64 3
		.amdhsa_fp16_overflow 0
		.amdhsa_memory_ordered 1
		.amdhsa_forward_progress 1
		.amdhsa_inst_pref_size 48
		.amdhsa_round_robin_scheduling 0
		.amdhsa_exception_fp_ieee_invalid_op 0
		.amdhsa_exception_fp_denorm_src 0
		.amdhsa_exception_fp_ieee_div_zero 0
		.amdhsa_exception_fp_ieee_overflow 0
		.amdhsa_exception_fp_ieee_underflow 0
		.amdhsa_exception_fp_ieee_inexact 0
		.amdhsa_exception_int_div_zero 0
	.end_amdhsa_kernel
	.section	.text._ZN9rocsparseL51gtsv_nopivot_strided_batch_crpcr_pow2_shared_kernelILj128ELj64E21rocsparse_complex_numIfEEEviiiPKT1_S5_S5_PS3_,"axG",@progbits,_ZN9rocsparseL51gtsv_nopivot_strided_batch_crpcr_pow2_shared_kernelILj128ELj64E21rocsparse_complex_numIfEEEviiiPKT1_S5_S5_PS3_,comdat
.Lfunc_end49:
	.size	_ZN9rocsparseL51gtsv_nopivot_strided_batch_crpcr_pow2_shared_kernelILj128ELj64E21rocsparse_complex_numIfEEEviiiPKT1_S5_S5_PS3_, .Lfunc_end49-_ZN9rocsparseL51gtsv_nopivot_strided_batch_crpcr_pow2_shared_kernelILj128ELj64E21rocsparse_complex_numIfEEEviiiPKT1_S5_S5_PS3_
                                        ; -- End function
	.set _ZN9rocsparseL51gtsv_nopivot_strided_batch_crpcr_pow2_shared_kernelILj128ELj64E21rocsparse_complex_numIfEEEviiiPKT1_S5_S5_PS3_.num_vgpr, 45
	.set _ZN9rocsparseL51gtsv_nopivot_strided_batch_crpcr_pow2_shared_kernelILj128ELj64E21rocsparse_complex_numIfEEEviiiPKT1_S5_S5_PS3_.num_agpr, 0
	.set _ZN9rocsparseL51gtsv_nopivot_strided_batch_crpcr_pow2_shared_kernelILj128ELj64E21rocsparse_complex_numIfEEEviiiPKT1_S5_S5_PS3_.numbered_sgpr, 13
	.set _ZN9rocsparseL51gtsv_nopivot_strided_batch_crpcr_pow2_shared_kernelILj128ELj64E21rocsparse_complex_numIfEEEviiiPKT1_S5_S5_PS3_.num_named_barrier, 0
	.set _ZN9rocsparseL51gtsv_nopivot_strided_batch_crpcr_pow2_shared_kernelILj128ELj64E21rocsparse_complex_numIfEEEviiiPKT1_S5_S5_PS3_.private_seg_size, 0
	.set _ZN9rocsparseL51gtsv_nopivot_strided_batch_crpcr_pow2_shared_kernelILj128ELj64E21rocsparse_complex_numIfEEEviiiPKT1_S5_S5_PS3_.uses_vcc, 1
	.set _ZN9rocsparseL51gtsv_nopivot_strided_batch_crpcr_pow2_shared_kernelILj128ELj64E21rocsparse_complex_numIfEEEviiiPKT1_S5_S5_PS3_.uses_flat_scratch, 0
	.set _ZN9rocsparseL51gtsv_nopivot_strided_batch_crpcr_pow2_shared_kernelILj128ELj64E21rocsparse_complex_numIfEEEviiiPKT1_S5_S5_PS3_.has_dyn_sized_stack, 0
	.set _ZN9rocsparseL51gtsv_nopivot_strided_batch_crpcr_pow2_shared_kernelILj128ELj64E21rocsparse_complex_numIfEEEviiiPKT1_S5_S5_PS3_.has_recursion, 0
	.set _ZN9rocsparseL51gtsv_nopivot_strided_batch_crpcr_pow2_shared_kernelILj128ELj64E21rocsparse_complex_numIfEEEviiiPKT1_S5_S5_PS3_.has_indirect_call, 0
	.section	.AMDGPU.csdata,"",@progbits
; Kernel info:
; codeLenInByte = 6120
; TotalNumSgprs: 15
; NumVgprs: 45
; ScratchSize: 0
; MemoryBound: 0
; FloatMode: 240
; IeeeMode: 1
; LDSByteSize: 12800 bytes/workgroup (compile time only)
; SGPRBlocks: 0
; VGPRBlocks: 2
; NumSGPRsForWavesPerEU: 15
; NumVGPRsForWavesPerEU: 45
; NamedBarCnt: 0
; Occupancy: 16
; WaveLimiterHint : 0
; COMPUTE_PGM_RSRC2:SCRATCH_EN: 0
; COMPUTE_PGM_RSRC2:USER_SGPR: 2
; COMPUTE_PGM_RSRC2:TRAP_HANDLER: 0
; COMPUTE_PGM_RSRC2:TGID_X_EN: 1
; COMPUTE_PGM_RSRC2:TGID_Y_EN: 0
; COMPUTE_PGM_RSRC2:TGID_Z_EN: 0
; COMPUTE_PGM_RSRC2:TIDIG_COMP_CNT: 0
	.section	.text._ZN9rocsparseL51gtsv_nopivot_strided_batch_crpcr_pow2_shared_kernelILj256ELj64E21rocsparse_complex_numIfEEEviiiPKT1_S5_S5_PS3_,"axG",@progbits,_ZN9rocsparseL51gtsv_nopivot_strided_batch_crpcr_pow2_shared_kernelILj256ELj64E21rocsparse_complex_numIfEEEviiiPKT1_S5_S5_PS3_,comdat
	.globl	_ZN9rocsparseL51gtsv_nopivot_strided_batch_crpcr_pow2_shared_kernelILj256ELj64E21rocsparse_complex_numIfEEEviiiPKT1_S5_S5_PS3_ ; -- Begin function _ZN9rocsparseL51gtsv_nopivot_strided_batch_crpcr_pow2_shared_kernelILj256ELj64E21rocsparse_complex_numIfEEEviiiPKT1_S5_S5_PS3_
	.p2align	8
	.type	_ZN9rocsparseL51gtsv_nopivot_strided_batch_crpcr_pow2_shared_kernelILj256ELj64E21rocsparse_complex_numIfEEEviiiPKT1_S5_S5_PS3_,@function
_ZN9rocsparseL51gtsv_nopivot_strided_batch_crpcr_pow2_shared_kernelILj256ELj64E21rocsparse_complex_numIfEEEviiiPKT1_S5_S5_PS3_: ; @_ZN9rocsparseL51gtsv_nopivot_strided_batch_crpcr_pow2_shared_kernelILj256ELj64E21rocsparse_complex_numIfEEEviiiPKT1_S5_S5_PS3_
; %bb.0:
	s_load_b32 s2, s[0:1], 0x8
	s_bfe_u32 s3, ttmp6, 0x4000c
	s_load_b256 s[4:11], s[0:1], 0x10
	s_add_co_i32 s3, s3, 1
	s_and_b32 s12, ttmp6, 15
	s_wait_xcnt 0x0
	s_mul_i32 s0, ttmp9, s3
	s_getreg_b32 s1, hwreg(HW_REG_IB_STS2, 6, 4)
	s_add_co_i32 s12, s12, s0
	s_cmp_eq_u32 s1, 0
	v_dual_lshlrev_b32 v14, 3, v0 :: v_dual_add_nc_u32 v17, 1, v0
	s_cselect_b32 s0, ttmp9, s12
	s_wait_kmcnt 0x0
	v_mad_u32 v2, s2, s0, v0
	v_cmp_gt_u32_e64 s0, 0x100, v0
	s_delay_alu instid0(VALU_DEP_2)
	v_add_nc_u32_e32 v4, 0x100, v2
	s_clause 0x3
	global_load_b64 v[6:7], v2, s[4:5] scale_offset
	global_load_b64 v[8:9], v2, s[6:7] scale_offset
	;; [unrolled: 1-line block ×4, first 2 shown]
	s_clause 0x3
	global_load_b64 v[18:19], v4, s[4:5] scale_offset
	global_load_b64 v[20:21], v4, s[6:7] scale_offset
	;; [unrolled: 1-line block ×4, first 2 shown]
	s_wait_loadcnt 0x3
	ds_store_2addr_stride64_b64 v14, v[6:7], v[18:19] offset1:4
	s_wait_loadcnt 0x2
	ds_store_2addr_stride64_b64 v14, v[8:9], v[20:21] offset0:8 offset1:12
	s_wait_loadcnt 0x1
	ds_store_2addr_stride64_b64 v14, v[10:11], v[22:23] offset0:16 offset1:20
	s_wait_loadcnt 0x0
	ds_store_2addr_stride64_b64 v14, v[12:13], v[24:25] offset0:32 offset1:36
	s_wait_dscnt 0x0
	s_barrier_signal -1
	s_barrier_wait -1
	s_and_saveexec_b32 s2, s0
	s_cbranch_execz .LBB50_2
; %bb.1:
	v_dual_lshlrev_b32 v1, 1, v17 :: v_dual_lshlrev_b32 v3, 4, v17
	s_delay_alu instid0(VALU_DEP_1)
	v_min_u32_e32 v1, 0x1ff, v1
	ds_load_b128 v[6:9], v3 offset:4080
	v_add_nc_u32_e32 v37, -8, v3
	v_add_nc_u32_e32 v23, 0x1800, v3
	s_wait_dscnt 0x0
	v_dual_lshlrev_b32 v1, 3, v1 :: v_dual_mul_f32 v5, v7, v7
	ds_load_2addr_stride64_b64 v[10:13], v1 offset1:8
	ds_load_b128 v[18:21], v3 offset:16368
	ds_load_b64 v[30:31], v37
	s_wait_dscnt 0x2
	v_dual_fmac_f32 v5, v6, v6 :: v_dual_mul_f32 v15, v13, v13
	s_delay_alu instid0(VALU_DEP_1) | instskip(SKIP_1) | instid1(VALU_DEP_3)
	v_div_scale_f32 v16, null, v5, v5, 1.0
	v_div_scale_f32 v38, vcc_lo, 1.0, v5, 1.0
	v_fmac_f32_e32 v15, v12, v12
	s_delay_alu instid0(VALU_DEP_3) | instskip(NEXT) | instid1(VALU_DEP_1)
	v_rcp_f32_e32 v34, v16
	v_div_scale_f32 v35, null, v15, v15, 1.0
	v_div_scale_f32 v40, s1, 1.0, v15, 1.0
	s_delay_alu instid0(TRANS32_DEP_1) | instskip(NEXT) | instid1(VALU_DEP_3)
	v_fma_f32 v22, -v16, v34, 1.0
	v_rcp_f32_e32 v36, v35
	s_delay_alu instid0(VALU_DEP_1) | instskip(NEXT) | instid1(TRANS32_DEP_1)
	v_fmac_f32_e32 v34, v22, v34
	v_fma_f32 v22, -v35, v36, 1.0
	s_delay_alu instid0(VALU_DEP_1) | instskip(NEXT) | instid1(VALU_DEP_3)
	v_fmac_f32_e32 v36, v22, v36
	v_mul_f32_e32 v39, v38, v34
	ds_load_2addr_b64 v[22:25], v23 offset0:254 offset1:255
	v_mul_f32_e32 v41, v40, v36
	v_fma_f32 v26, -v16, v39, v38
	s_delay_alu instid0(VALU_DEP_1) | instskip(NEXT) | instid1(VALU_DEP_3)
	v_dual_add_nc_u32 v27, -16, v3 :: v_dual_fmac_f32 v39, v26, v34
	v_fma_f32 v42, -v35, v41, v40
	ds_load_b64 v[32:33], v27
	ds_load_2addr_stride64_b64 v[26:29], v1 offset0:16 offset1:32
	s_wait_dscnt 0x3
	v_dual_fma_f32 v1, -v16, v39, v38 :: v_dual_mul_f32 v16, v7, -v30
	v_dual_fmac_f32 v41, v42, v36 :: v_dual_mul_f32 v7, v7, v31
	s_delay_alu instid0(VALU_DEP_2) | instskip(SKIP_1) | instid1(VALU_DEP_3)
	v_div_fmas_f32 v1, v1, v34, v39
	s_wait_dscnt 0x2
	v_dual_fmac_f32 v16, v31, v6 :: v_dual_mul_f32 v34, v13, -v24
	s_delay_alu instid0(VALU_DEP_3) | instskip(SKIP_3) | instid1(VALU_DEP_3)
	v_dual_fma_f32 v31, -v35, v41, v40 :: v_dual_fmac_f32 v7, v30, v6
	s_mov_b32 vcc_lo, s1
	v_div_fixup_f32 v1, v1, v5, 1.0
	v_mul_f32_e32 v13, v13, v25
	v_div_fmas_f32 v5, v31, v36, v41
	s_delay_alu instid0(VALU_DEP_3) | instskip(NEXT) | instid1(VALU_DEP_3)
	v_dual_fmac_f32 v34, v25, v12 :: v_dual_mul_f32 v6, v16, v1
	v_dual_fmac_f32 v13, v24, v12 :: v_dual_mul_f32 v12, v1, v7
	s_delay_alu instid0(VALU_DEP_3) | instskip(SKIP_1) | instid1(VALU_DEP_4)
	v_div_fixup_f32 v5, v5, v15, 1.0
	v_add_nc_u32_e32 v1, 0x1f8, v3
	v_pk_mul_f32 v[24:25], v[6:7], v[22:23] op_sel:[0,1] op_sel_hi:[0,0] neg_lo:[0,1]
	v_pk_mul_f32 v[30:31], v[6:7], v[18:19] op_sel:[0,1] op_sel_hi:[0,0] neg_lo:[0,1]
	s_wait_dscnt 0x1
	v_pk_mul_f32 v[6:7], v[6:7], v[32:33] op_sel:[0,1] op_sel_hi:[0,0] neg_hi:[0,1]
	v_mul_f32_e32 v16, v34, v5
	v_mul_f32_e32 v34, v5, v13
	v_pk_fma_f32 v[22:23], v[22:23], v[12:13], v[24:25] op_sel_hi:[1,0,1]
	v_pk_fma_f32 v[18:19], v[18:19], v[12:13], v[30:31] op_sel_hi:[1,0,1]
	v_pk_fma_f32 v[6:7], v[32:33], v[12:13], v[6:7] op_sel_hi:[1,0,1] neg_lo:[1,0,0] neg_hi:[1,0,0]
	s_wait_dscnt 0x0
	v_pk_mul_f32 v[24:25], v[16:17], v[28:29] op_sel:[0,1] op_sel_hi:[0,0] neg_lo:[0,1]
	v_pk_mul_f32 v[30:31], v[16:17], v[10:11] op_sel:[0,1] op_sel_hi:[0,0] neg_lo:[0,1]
	v_pk_add_f32 v[8:9], v[8:9], v[22:23] neg_lo:[0,1] neg_hi:[0,1]
	v_pk_add_f32 v[18:19], v[20:21], v[18:19] neg_lo:[0,1] neg_hi:[0,1]
	v_pk_mul_f32 v[22:23], v[16:17], v[26:27] op_sel:[0,1] op_sel_hi:[0,0] neg_hi:[0,1]
	v_pk_fma_f32 v[20:21], v[28:29], v[34:35], v[24:25] op_sel_hi:[1,0,1]
	v_pk_fma_f32 v[10:11], v[10:11], v[34:35], v[30:31] op_sel_hi:[1,0,1]
	s_delay_alu instid0(VALU_DEP_2) | instskip(NEXT) | instid1(VALU_DEP_4)
	v_pk_add_f32 v[12:13], v[18:19], v[20:21] neg_lo:[0,1] neg_hi:[0,1]
	v_pk_fma_f32 v[18:19], v[26:27], v[34:35], v[22:23] op_sel_hi:[1,0,1] neg_lo:[1,0,0] neg_hi:[1,0,0]
	s_delay_alu instid0(VALU_DEP_3)
	v_pk_add_f32 v[8:9], v[8:9], v[10:11] neg_lo:[0,1] neg_hi:[0,1]
	ds_store_b64 v3, v[12:13] offset:16376
	ds_store_b64 v37, v[6:7]
	ds_store_2addr_stride64_b64 v1, v[8:9], v[18:19] offset0:7 offset1:15
.LBB50_2:
	s_or_b32 exec_lo, exec_lo, s2
	v_cmp_gt_u32_e64 s1, 0x80, v0
	s_wait_dscnt 0x0
	s_barrier_signal -1
	s_barrier_wait -1
	s_and_saveexec_b32 s3, s1
	s_cbranch_execz .LBB50_4
; %bb.3:
	v_lshl_or_b32 v3, v17, 2, 1
	s_delay_alu instid0(VALU_DEP_1) | instskip(NEXT) | instid1(VALU_DEP_1)
	v_min_u32_e32 v3, 0x1ff, v3
	v_dual_lshlrev_b32 v1, 5, v17 :: v_dual_lshlrev_b32 v3, 3, v3
	s_delay_alu instid0(VALU_DEP_1)
	v_add_nc_u32_e32 v5, 0x800, v1
	v_subrev_nc_u32_e32 v26, 24, v1
	ds_load_2addr_stride64_b64 v[10:13], v3 offset1:8
	ds_load_2addr_b64 v[6:9], v5 offset0:253 offset1:255
	s_wait_dscnt 0x0
	v_dual_mul_f32 v15, v13, v13 :: v_dual_mul_f32 v5, v7, v7
	s_delay_alu instid0(VALU_DEP_1) | instskip(NEXT) | instid1(VALU_DEP_1)
	v_dual_fmac_f32 v15, v12, v12 :: v_dual_fmac_f32 v5, v6, v6
	v_div_scale_f32 v35, null, v15, v15, 1.0
	s_delay_alu instid0(VALU_DEP_2) | instskip(SKIP_1) | instid1(VALU_DEP_3)
	v_div_scale_f32 v16, null, v5, v5, 1.0
	v_div_scale_f32 v37, vcc_lo, 1.0, v5, 1.0
	v_rcp_f32_e32 v36, v35
	s_delay_alu instid0(VALU_DEP_2) | instskip(SKIP_1) | instid1(TRANS32_DEP_1)
	v_rcp_f32_e32 v34, v16
	v_div_scale_f32 v40, s2, 1.0, v15, 1.0
	v_fma_f32 v18, -v16, v34, 1.0
	s_delay_alu instid0(VALU_DEP_1) | instskip(NEXT) | instid1(TRANS32_DEP_2)
	v_dual_fmac_f32 v34, v18, v34 :: v_dual_add_nc_u32 v38, -8, v1
	v_fma_f32 v18, -v35, v36, 1.0
	v_add_nc_u32_e32 v19, 0x1800, v1
	s_delay_alu instid0(VALU_DEP_3)
	v_mul_f32_e32 v39, v37, v34
	ds_load_b64 v[30:31], v38
	v_fmac_f32_e32 v36, v18, v36
	ds_load_2addr_b64 v[18:21], v19 offset0:253 offset1:255
	v_add_nc_u32_e32 v23, 0x3800, v1
	v_mul_f32_e32 v41, v40, v36
	s_delay_alu instid0(VALU_DEP_1) | instskip(NEXT) | instid1(VALU_DEP_1)
	v_dual_fma_f32 v22, -v16, v39, v37 :: v_dual_fma_f32 v42, -v35, v41, v40
	v_fmac_f32_e32 v39, v22, v34
	ds_load_2addr_b64 v[22:25], v23 offset0:253 offset1:255
	ds_load_b64 v[32:33], v26
	ds_load_2addr_stride64_b64 v[26:29], v3 offset0:16 offset1:32
	v_fmac_f32_e32 v41, v42, v36
	s_wait_dscnt 0x4
	v_dual_fma_f32 v3, -v16, v39, v37 :: v_dual_mul_f32 v16, v7, -v30
	v_mul_f32_e32 v7, v7, v31
	s_delay_alu instid0(VALU_DEP_2)
	v_div_fmas_f32 v3, v3, v34, v39
	s_mov_b32 vcc_lo, s2
	s_wait_dscnt 0x3
	v_dual_mul_f32 v34, v13, -v20 :: v_dual_fmac_f32 v16, v31, v6
	v_fma_f32 v31, -v35, v41, v40
	v_div_fixup_f32 v3, v3, v5, 1.0
	v_dual_fmac_f32 v7, v30, v6 :: v_dual_mul_f32 v13, v13, v21
	s_delay_alu instid0(VALU_DEP_4) | instskip(NEXT) | instid1(VALU_DEP_4)
	v_fmac_f32_e32 v34, v21, v12
	v_div_fmas_f32 v5, v31, v36, v41
	s_delay_alu instid0(VALU_DEP_4) | instskip(NEXT) | instid1(VALU_DEP_4)
	v_mul_f32_e32 v6, v16, v3
	v_dual_fmac_f32 v13, v20, v12 :: v_dual_mul_f32 v12, v3, v7
	s_delay_alu instid0(VALU_DEP_3) | instskip(SKIP_1) | instid1(VALU_DEP_3)
	v_div_fixup_f32 v5, v5, v15, 1.0
	s_wait_dscnt 0x2
	v_pk_mul_f32 v[20:21], v[6:7], v[22:23] op_sel:[0,1] op_sel_hi:[0,0] neg_lo:[0,1]
	v_pk_mul_f32 v[30:31], v[6:7], v[18:19] op_sel:[0,1] op_sel_hi:[0,0] neg_lo:[0,1]
	s_wait_dscnt 0x1
	v_pk_mul_f32 v[6:7], v[6:7], v[32:33] op_sel:[0,1] op_sel_hi:[0,0] neg_hi:[0,1]
	v_add_nc_u32_e32 v3, 0x1f8, v1
	v_mul_f32_e32 v16, v34, v5
	v_mul_f32_e32 v34, v5, v13
	v_pk_fma_f32 v[20:21], v[22:23], v[12:13], v[20:21] op_sel_hi:[1,0,1]
	v_pk_fma_f32 v[18:19], v[18:19], v[12:13], v[30:31] op_sel_hi:[1,0,1]
	v_pk_fma_f32 v[6:7], v[32:33], v[12:13], v[6:7] op_sel_hi:[1,0,1] neg_lo:[1,0,0] neg_hi:[1,0,0]
	s_wait_dscnt 0x0
	v_pk_mul_f32 v[22:23], v[16:17], v[28:29] op_sel:[0,1] op_sel_hi:[0,0] neg_lo:[0,1]
	v_pk_mul_f32 v[30:31], v[16:17], v[10:11] op_sel:[0,1] op_sel_hi:[0,0] neg_lo:[0,1]
	v_pk_add_f32 v[20:21], v[24:25], v[20:21] neg_lo:[0,1] neg_hi:[0,1]
	v_pk_mul_f32 v[36:37], v[16:17], v[26:27] op_sel:[0,1] op_sel_hi:[0,0] neg_hi:[0,1]
	v_pk_add_f32 v[8:9], v[8:9], v[18:19] neg_lo:[0,1] neg_hi:[0,1]
	v_pk_fma_f32 v[22:23], v[28:29], v[34:35], v[22:23] op_sel_hi:[1,0,1]
	v_pk_fma_f32 v[10:11], v[10:11], v[34:35], v[30:31] op_sel_hi:[1,0,1]
	s_delay_alu instid0(VALU_DEP_4) | instskip(NEXT) | instid1(VALU_DEP_3)
	v_pk_fma_f32 v[18:19], v[26:27], v[34:35], v[36:37] op_sel_hi:[1,0,1] neg_lo:[1,0,0] neg_hi:[1,0,0]
	v_pk_add_f32 v[12:13], v[20:21], v[22:23] neg_lo:[0,1] neg_hi:[0,1]
	s_delay_alu instid0(VALU_DEP_3)
	v_pk_add_f32 v[8:9], v[8:9], v[10:11] neg_lo:[0,1] neg_hi:[0,1]
	ds_store_b64 v1, v[12:13] offset:16376
	ds_store_b64 v38, v[6:7]
	ds_store_2addr_stride64_b64 v3, v[8:9], v[18:19] offset0:7 offset1:15
.LBB50_4:
	s_or_b32 exec_lo, exec_lo, s3
	v_cmp_gt_u32_e64 s2, 64, v0
	v_lshlrev_b32_e32 v1, 6, v17
	s_wait_dscnt 0x0
	s_barrier_signal -1
	s_barrier_wait -1
	s_and_saveexec_b32 s4, s2
	s_cbranch_execz .LBB50_6
; %bb.5:
	v_add_nc_u32_e32 v5, 0x800, v1
	v_lshl_or_b32 v3, v17, 3, 3
	v_subrev_nc_u32_e32 v26, 40, v1
	v_add_nc_u32_e32 v37, -8, v1
	ds_load_2addr_b64 v[6:9], v5 offset0:251 offset1:255
	v_min_u32_e32 v3, 0x1ff, v3
	ds_load_b64 v[30:31], v37
	v_add_nc_u32_e32 v23, 0x3800, v1
	s_wait_dscnt 0x1
	v_mul_f32_e32 v5, v7, v7
	s_delay_alu instid0(VALU_DEP_1) | instskip(SKIP_3) | instid1(VALU_DEP_2)
	v_dual_lshlrev_b32 v3, 3, v3 :: v_dual_fmac_f32 v5, v6, v6
	ds_load_2addr_stride64_b64 v[10:13], v3 offset1:8
	v_div_scale_f32 v16, null, v5, v5, 1.0
	v_div_scale_f32 v38, vcc_lo, 1.0, v5, 1.0
	v_rcp_f32_e32 v34, v16
	v_nop
	s_delay_alu instid0(TRANS32_DEP_1) | instskip(SKIP_1) | instid1(VALU_DEP_1)
	v_fma_f32 v18, -v16, v34, 1.0
	s_wait_dscnt 0x0
	v_dual_mul_f32 v15, v13, v13 :: v_dual_fmac_f32 v34, v18, v34
	s_delay_alu instid0(VALU_DEP_1) | instskip(NEXT) | instid1(VALU_DEP_1)
	v_fmac_f32_e32 v15, v12, v12
	v_div_scale_f32 v35, null, v15, v15, 1.0
	v_div_scale_f32 v40, s3, 1.0, v15, 1.0
	s_delay_alu instid0(VALU_DEP_2) | instskip(SKIP_1) | instid1(TRANS32_DEP_1)
	v_rcp_f32_e32 v36, v35
	v_nop
	v_fma_f32 v18, -v35, v36, 1.0
	s_delay_alu instid0(VALU_DEP_1) | instskip(SKIP_3) | instid1(VALU_DEP_1)
	v_dual_fmac_f32 v36, v18, v36 :: v_dual_add_nc_u32 v19, 0x1800, v1
	v_mul_f32_e32 v39, v38, v34
	ds_load_2addr_b64 v[18:21], v19 offset0:251 offset1:255
	v_mul_f32_e32 v41, v40, v36
	v_dual_fma_f32 v22, -v16, v39, v38 :: v_dual_fma_f32 v42, -v35, v41, v40
	s_delay_alu instid0(VALU_DEP_1)
	v_fmac_f32_e32 v39, v22, v34
	ds_load_2addr_b64 v[22:25], v23 offset0:251 offset1:255
	ds_load_b64 v[32:33], v26
	ds_load_2addr_stride64_b64 v[26:29], v3 offset0:16 offset1:32
	v_dual_fmac_f32 v41, v42, v36 :: v_dual_fma_f32 v3, -v16, v39, v38
	v_dual_mul_f32 v16, v7, -v30 :: v_dual_mul_f32 v7, v7, v31
	s_delay_alu instid0(VALU_DEP_2) | instskip(NEXT) | instid1(VALU_DEP_2)
	v_div_fmas_f32 v3, v3, v34, v39
	v_fmac_f32_e32 v16, v31, v6
	s_mov_b32 vcc_lo, s3
	s_delay_alu instid0(VALU_DEP_3) | instskip(NEXT) | instid1(VALU_DEP_3)
	v_fmac_f32_e32 v7, v30, v6
	v_div_fixup_f32 v3, v3, v5, 1.0
	s_wait_dscnt 0x3
	v_dual_mul_f32 v34, v13, -v20 :: v_dual_mul_f32 v13, v13, v21
	s_delay_alu instid0(VALU_DEP_2) | instskip(NEXT) | instid1(VALU_DEP_2)
	v_dual_fma_f32 v31, -v35, v41, v40 :: v_dual_mul_f32 v6, v16, v3
	v_dual_fmac_f32 v34, v21, v12 :: v_dual_fmac_f32 v13, v20, v12
	s_delay_alu instid0(VALU_DEP_2) | instskip(NEXT) | instid1(VALU_DEP_3)
	v_div_fmas_f32 v5, v31, v36, v41
	v_pk_mul_f32 v[20:21], v[6:7], v[18:19] op_sel:[0,1] op_sel_hi:[0,0] neg_lo:[0,1]
	s_wait_dscnt 0x2
	v_pk_mul_f32 v[30:31], v[6:7], v[22:23] op_sel:[0,1] op_sel_hi:[0,0] neg_lo:[0,1]
	s_delay_alu instid0(VALU_DEP_3)
	v_div_fixup_f32 v5, v5, v15, 1.0
	v_mul_f32_e32 v12, v3, v7
	s_wait_dscnt 0x1
	v_pk_mul_f32 v[6:7], v[6:7], v[32:33] op_sel:[0,1] op_sel_hi:[0,0] neg_hi:[0,1]
	v_add_nc_u32_e32 v3, 0x1f8, v1
	v_mul_f32_e32 v16, v34, v5
	v_mul_f32_e32 v34, v5, v13
	v_pk_fma_f32 v[18:19], v[18:19], v[12:13], v[20:21] op_sel_hi:[1,0,1]
	v_pk_fma_f32 v[20:21], v[22:23], v[12:13], v[30:31] op_sel_hi:[1,0,1]
	v_pk_fma_f32 v[6:7], v[32:33], v[12:13], v[6:7] op_sel_hi:[1,0,1] neg_lo:[1,0,0] neg_hi:[1,0,0]
	s_wait_dscnt 0x0
	v_pk_mul_f32 v[22:23], v[16:17], v[28:29] op_sel:[0,1] op_sel_hi:[0,0] neg_lo:[0,1]
	v_pk_mul_f32 v[30:31], v[16:17], v[10:11] op_sel:[0,1] op_sel_hi:[0,0] neg_lo:[0,1]
	v_pk_add_f32 v[8:9], v[8:9], v[18:19] neg_lo:[0,1] neg_hi:[0,1]
	v_pk_add_f32 v[18:19], v[24:25], v[20:21] neg_lo:[0,1] neg_hi:[0,1]
	s_delay_alu instid0(VALU_DEP_4) | instskip(SKIP_2) | instid1(VALU_DEP_3)
	v_pk_fma_f32 v[20:21], v[28:29], v[34:35], v[22:23] op_sel_hi:[1,0,1]
	v_pk_mul_f32 v[22:23], v[16:17], v[26:27] op_sel:[0,1] op_sel_hi:[0,0] neg_hi:[0,1]
	v_pk_fma_f32 v[10:11], v[10:11], v[34:35], v[30:31] op_sel_hi:[1,0,1]
	v_pk_add_f32 v[12:13], v[18:19], v[20:21] neg_lo:[0,1] neg_hi:[0,1]
	s_delay_alu instid0(VALU_DEP_3) | instskip(NEXT) | instid1(VALU_DEP_3)
	v_pk_fma_f32 v[18:19], v[26:27], v[34:35], v[22:23] op_sel_hi:[1,0,1] neg_lo:[1,0,0] neg_hi:[1,0,0]
	v_pk_add_f32 v[8:9], v[8:9], v[10:11] neg_lo:[0,1] neg_hi:[0,1]
	ds_store_b64 v1, v[12:13] offset:16376
	ds_store_b64 v37, v[6:7]
	ds_store_2addr_stride64_b64 v3, v[8:9], v[18:19] offset0:7 offset1:15
.LBB50_6:
	s_or_b32 exec_lo, exec_lo, s4
	s_wait_dscnt 0x0
	s_barrier_signal -1
	s_barrier_wait -1
	s_and_saveexec_b32 s3, s2
	s_cbranch_execz .LBB50_8
; %bb.7:
	v_add_nc_u32_e32 v3, 0x1f8, v1
	v_add_nc_u32_e32 v5, -8, v1
	ds_load_2addr_stride64_b64 v[6:9], v3 offset0:7 offset1:15
	ds_load_b64 v[10:11], v5
	ds_load_b64 v[12:13], v1 offset:16376
	s_wait_dscnt 0x1
	ds_store_2addr_stride64_b64 v14, v[10:11], v[6:7] offset0:40 offset1:41
	s_wait_dscnt 0x1
	ds_store_2addr_stride64_b64 v14, v[8:9], v[12:13] offset0:42 offset1:44
.LBB50_8:
	s_or_b32 exec_lo, exec_lo, s3
	v_or_b32_e32 v5, 0x5000, v14
	v_add_nc_u32_e32 v15, 0x5400, v14
	v_add_nc_u32_e32 v16, 0x5200, v14
	v_or_b32_e32 v3, 0x5800, v14
	s_wait_dscnt 0x0
	s_barrier_signal -1
	s_barrier_wait -1
                                        ; implicit-def: $vgpr8_vgpr9
                                        ; implicit-def: $vgpr10_vgpr11
                                        ; implicit-def: $vgpr6_vgpr7
                                        ; implicit-def: $vgpr12_vgpr13
	s_and_saveexec_b32 s4, s2
	s_cbranch_execz .LBB50_10
; %bb.9:
	v_sub_nc_u32_e64 v6, v0, 1 clamp
	v_min_u32_e32 v7, 63, v17
	s_delay_alu instid0(VALU_DEP_1)
	v_dual_lshlrev_b32 v17, 3, v6 :: v_dual_lshlrev_b32 v22, 3, v7
	ds_load_2addr_stride64_b64 v[6:9], v17 offset0:40 offset1:41
	ds_load_2addr_stride64_b64 v[10:13], v22 offset0:40 offset1:41
	ds_load_b64 v[26:27], v5
	ds_load_b64 v[28:29], v15
	s_wait_dscnt 0x2
	v_mul_f32_e32 v35, v13, v13
	s_delay_alu instid0(VALU_DEP_1) | instskip(NEXT) | instid1(VALU_DEP_1)
	v_dual_mul_f32 v34, v9, v9 :: v_dual_fmac_f32 v35, v12, v12
	v_fmac_f32_e32 v34, v8, v8
	s_delay_alu instid0(VALU_DEP_2) | instskip(NEXT) | instid1(VALU_DEP_2)
	v_div_scale_f32 v37, null, v35, v35, 1.0
	v_div_scale_f32 v36, null, v34, v34, 1.0
	v_div_scale_f32 v40, vcc_lo, 1.0, v34, 1.0
	s_delay_alu instid0(VALU_DEP_3) | instskip(NEXT) | instid1(VALU_DEP_2)
	v_rcp_f32_e32 v39, v37
	v_rcp_f32_e32 v38, v36
	v_div_scale_f32 v41, s3, 1.0, v35, 1.0
	s_delay_alu instid0(TRANS32_DEP_2) | instskip(NEXT) | instid1(TRANS32_DEP_1)
	v_fma_f32 v19, -v37, v39, 1.0
	v_fma_f32 v18, -v36, v38, 1.0
	s_delay_alu instid0(VALU_DEP_1)
	v_dual_fmac_f32 v39, v19, v39 :: v_dual_fmac_f32 v38, v18, v38
	ds_load_b64 v[30:31], v16
	ds_load_b64 v[32:33], v3
	ds_load_2addr_stride64_b64 v[18:21], v17 offset0:42 offset1:44
	s_wait_dscnt 0x4
	v_dual_mul_f32 v17, v9, v27 :: v_dual_mul_f32 v9, v9, -v26
	v_dual_mul_f32 v43, v41, v39 :: v_dual_mul_f32 v42, v40, v38
	s_delay_alu instid0(VALU_DEP_2) | instskip(NEXT) | instid1(VALU_DEP_2)
	v_fmac_f32_e32 v9, v27, v8
	v_dual_fma_f32 v44, -v37, v43, v41 :: v_dual_fma_f32 v23, -v36, v42, v40
	s_delay_alu instid0(VALU_DEP_1) | instskip(SKIP_4) | instid1(VALU_DEP_2)
	v_dual_fmac_f32 v43, v44, v39 :: v_dual_fmac_f32 v42, v23, v38
	ds_load_2addr_stride64_b64 v[22:25], v22 offset0:42 offset1:44
	s_wait_dscnt 0x4
	v_dual_fma_f32 v36, -v36, v42, v40 :: v_dual_mul_f32 v40, v13, -v28
	v_mul_f32_e32 v13, v13, v29
	v_div_fmas_f32 v36, v36, v38, v42
	s_delay_alu instid0(VALU_DEP_2) | instskip(SKIP_2) | instid1(VALU_DEP_3)
	v_dual_fmac_f32 v40, v29, v12 :: v_dual_fmac_f32 v13, v28, v12
	v_fma_f32 v37, -v37, v43, v41
	s_mov_b32 vcc_lo, s3
	v_div_fixup_f32 v27, v36, v34, 1.0
	v_fmac_f32_e32 v17, v26, v8
	s_delay_alu instid0(VALU_DEP_3) | instskip(NEXT) | instid1(VALU_DEP_2)
	v_div_fmas_f32 v37, v37, v39, v43
	v_dual_mul_f32 v8, v9, v27 :: v_dual_mul_f32 v26, v27, v17
	s_delay_alu instid0(VALU_DEP_2) | instskip(SKIP_1) | instid1(VALU_DEP_2)
	v_div_fixup_f32 v36, v37, v35, 1.0
	s_wait_dscnt 0x1
	v_pk_mul_f32 v[28:29], v[8:9], v[18:19] op_sel:[0,1] op_sel_hi:[0,0] neg_lo:[0,1]
	v_pk_mul_f32 v[34:35], v[8:9], v[20:21] op_sel:[0,1] op_sel_hi:[0,0] neg_lo:[0,1]
	v_pk_mul_f32 v[8:9], v[8:9], v[6:7] op_sel:[0,1] op_sel_hi:[0,0] neg_hi:[0,1]
	v_mul_f32_e32 v12, v40, v36
	v_mul_f32_e32 v36, v36, v13
	v_pk_fma_f32 v[18:19], v[18:19], v[26:27], v[28:29] op_sel_hi:[1,0,1]
	v_pk_fma_f32 v[20:21], v[20:21], v[26:27], v[34:35] op_sel_hi:[1,0,1]
	v_pk_fma_f32 v[6:7], v[6:7], v[26:27], v[8:9] op_sel_hi:[1,0,1] neg_lo:[1,0,0] neg_hi:[1,0,0]
	v_pk_mul_f32 v[38:39], v[12:13], v[10:11] op_sel:[0,1] op_sel_hi:[0,0] neg_lo:[0,1]
	s_wait_dscnt 0x0
	v_pk_mul_f32 v[40:41], v[12:13], v[24:25] op_sel:[0,1] op_sel_hi:[0,0] neg_lo:[0,1]
	v_pk_add_f32 v[18:19], v[30:31], v[18:19] neg_lo:[0,1] neg_hi:[0,1]
	v_pk_add_f32 v[20:21], v[32:33], v[20:21] neg_lo:[0,1] neg_hi:[0,1]
	v_pk_mul_f32 v[12:13], v[12:13], v[22:23] op_sel:[0,1] op_sel_hi:[0,0] neg_hi:[0,1]
	v_pk_fma_f32 v[10:11], v[10:11], v[36:37], v[38:39] op_sel_hi:[1,0,1]
	v_pk_fma_f32 v[24:25], v[24:25], v[36:37], v[40:41] op_sel_hi:[1,0,1]
	s_delay_alu instid0(VALU_DEP_3) | instskip(NEXT) | instid1(VALU_DEP_3)
	v_pk_fma_f32 v[12:13], v[22:23], v[36:37], v[12:13] op_sel_hi:[1,0,1] neg_lo:[1,0,0] neg_hi:[1,0,0]
	v_pk_add_f32 v[8:9], v[18:19], v[10:11] neg_lo:[0,1] neg_hi:[0,1]
	s_delay_alu instid0(VALU_DEP_3)
	v_pk_add_f32 v[10:11], v[20:21], v[24:25] neg_lo:[0,1] neg_hi:[0,1]
.LBB50_10:
	s_or_b32 exec_lo, exec_lo, s4
	s_barrier_signal -1
	s_barrier_wait -1
	s_and_saveexec_b32 s3, s2
	s_cbranch_execz .LBB50_12
; %bb.11:
	ds_store_b64 v5, v[6:7]
	ds_store_b64 v16, v[8:9]
	;; [unrolled: 1-line block ×4, first 2 shown]
.LBB50_12:
	s_or_b32 exec_lo, exec_lo, s3
	s_wait_dscnt 0x0
	s_barrier_signal -1
	s_barrier_wait -1
	s_and_saveexec_b32 s4, s2
	s_cbranch_execz .LBB50_14
; %bb.13:
	v_sub_nc_u32_e64 v6, v0, 2 clamp
	v_min_u32_e32 v7, 61, v0
	ds_load_b64 v[26:27], v5
	ds_load_b64 v[28:29], v15
	v_dual_lshlrev_b32 v17, 3, v6 :: v_dual_lshlrev_b32 v10, 3, v7
	ds_load_2addr_stride64_b64 v[6:9], v17 offset0:40 offset1:41
	s_wait_dscnt 0x0
	v_dual_add_nc_u32 v22, 16, v10 :: v_dual_mul_f32 v34, v9, v9
	ds_load_2addr_stride64_b64 v[10:13], v22 offset0:40 offset1:41
	ds_load_b64 v[30:31], v16
	ds_load_b64 v[32:33], v3
	s_wait_dscnt 0x2
	v_dual_fmac_f32 v34, v8, v8 :: v_dual_mul_f32 v35, v13, v13
	s_delay_alu instid0(VALU_DEP_1) | instskip(SKIP_1) | instid1(VALU_DEP_2)
	v_div_scale_f32 v36, null, v34, v34, 1.0
	v_div_scale_f32 v40, vcc_lo, 1.0, v34, 1.0
	v_rcp_f32_e32 v37, v36
	v_nop
	s_delay_alu instid0(TRANS32_DEP_1) | instskip(NEXT) | instid1(VALU_DEP_1)
	v_fma_f32 v18, -v36, v37, 1.0
	v_dual_fmac_f32 v35, v12, v12 :: v_dual_fmac_f32 v37, v18, v37
	s_delay_alu instid0(VALU_DEP_1) | instskip(SKIP_1) | instid1(VALU_DEP_2)
	v_div_scale_f32 v38, null, v35, v35, 1.0
	v_div_scale_f32 v42, s3, 1.0, v35, 1.0
	v_rcp_f32_e32 v39, v38
	v_nop
	s_delay_alu instid0(TRANS32_DEP_1) | instskip(NEXT) | instid1(VALU_DEP_1)
	v_fma_f32 v18, -v38, v39, 1.0
	v_dual_mul_f32 v41, v40, v37 :: v_dual_fmac_f32 v39, v18, v39
	s_delay_alu instid0(VALU_DEP_1) | instskip(NEXT) | instid1(VALU_DEP_1)
	v_dual_fma_f32 v18, -v36, v41, v40 :: v_dual_mul_f32 v43, v42, v39
	v_fmac_f32_e32 v41, v18, v37
	ds_load_2addr_stride64_b64 v[18:21], v17 offset0:42 offset1:44
	ds_load_2addr_stride64_b64 v[22:25], v22 offset0:42 offset1:44
	v_dual_fma_f32 v44, -v38, v43, v42 :: v_dual_fma_f32 v17, -v36, v41, v40
	s_delay_alu instid0(VALU_DEP_1) | instskip(NEXT) | instid1(VALU_DEP_2)
	v_dual_mul_f32 v36, v9, -v26 :: v_dual_fmac_f32 v43, v44, v39
	v_div_fmas_f32 v17, v17, v37, v41
	s_delay_alu instid0(VALU_DEP_2) | instskip(SKIP_2) | instid1(VALU_DEP_3)
	v_fmac_f32_e32 v36, v27, v8
	s_mov_b32 vcc_lo, s3
	v_dual_mul_f32 v37, v13, -v28 :: v_dual_mul_f32 v13, v13, v29
	v_div_fixup_f32 v17, v17, v34, 1.0
	v_mul_f32_e32 v9, v9, v27
	v_fma_f32 v27, -v38, v43, v42
	s_delay_alu instid0(VALU_DEP_2) | instskip(NEXT) | instid1(VALU_DEP_2)
	v_fmac_f32_e32 v9, v26, v8
	v_div_fmas_f32 v27, v27, v39, v43
	v_mul_f32_e32 v8, v36, v17
	v_fmac_f32_e32 v13, v28, v12
	v_fmac_f32_e32 v37, v29, v12
	v_mul_f32_e32 v12, v17, v9
	v_div_fixup_f32 v29, v27, v35, 1.0
	s_wait_dscnt 0x1
	v_pk_mul_f32 v[26:27], v[8:9], v[18:19] op_sel:[0,1] op_sel_hi:[0,0] neg_lo:[0,1]
	v_pk_mul_f32 v[34:35], v[8:9], v[20:21] op_sel:[0,1] op_sel_hi:[0,0] neg_lo:[0,1]
	v_pk_mul_f32 v[8:9], v[8:9], v[6:7] op_sel:[0,1] op_sel_hi:[0,0] neg_hi:[0,1]
	v_mul_f32_e32 v36, v29, v13
	v_mul_f32_e32 v28, v37, v29
	v_pk_fma_f32 v[18:19], v[18:19], v[12:13], v[26:27] op_sel_hi:[1,0,1]
	v_pk_fma_f32 v[20:21], v[20:21], v[12:13], v[34:35] op_sel_hi:[1,0,1]
	v_pk_fma_f32 v[6:7], v[6:7], v[12:13], v[8:9] op_sel_hi:[1,0,1] neg_lo:[1,0,0] neg_hi:[1,0,0]
	s_delay_alu instid0(VALU_DEP_4)
	v_pk_mul_f32 v[26:27], v[28:29], v[10:11] op_sel:[0,1] op_sel_hi:[0,0] neg_lo:[0,1]
	s_wait_dscnt 0x0
	v_pk_mul_f32 v[34:35], v[28:29], v[24:25] op_sel:[0,1] op_sel_hi:[0,0] neg_lo:[0,1]
	v_pk_add_f32 v[18:19], v[30:31], v[18:19] neg_lo:[0,1] neg_hi:[0,1]
	v_pk_add_f32 v[20:21], v[32:33], v[20:21] neg_lo:[0,1] neg_hi:[0,1]
	v_pk_fma_f32 v[10:11], v[10:11], v[36:37], v[26:27] op_sel_hi:[1,0,1]
	s_delay_alu instid0(VALU_DEP_4) | instskip(SKIP_1) | instid1(VALU_DEP_3)
	v_pk_fma_f32 v[24:25], v[24:25], v[36:37], v[34:35] op_sel_hi:[1,0,1]
	v_pk_mul_f32 v[26:27], v[28:29], v[22:23] op_sel:[0,1] op_sel_hi:[0,0] neg_hi:[0,1]
	v_pk_add_f32 v[8:9], v[18:19], v[10:11] neg_lo:[0,1] neg_hi:[0,1]
	s_delay_alu instid0(VALU_DEP_3) | instskip(NEXT) | instid1(VALU_DEP_3)
	v_pk_add_f32 v[10:11], v[20:21], v[24:25] neg_lo:[0,1] neg_hi:[0,1]
	v_pk_fma_f32 v[12:13], v[22:23], v[36:37], v[26:27] op_sel_hi:[1,0,1] neg_lo:[1,0,0] neg_hi:[1,0,0]
.LBB50_14:
	s_or_b32 exec_lo, exec_lo, s4
	s_barrier_signal -1
	s_barrier_wait -1
	s_and_saveexec_b32 s3, s2
	s_cbranch_execz .LBB50_16
; %bb.15:
	ds_store_b64 v5, v[6:7]
	ds_store_b64 v16, v[8:9]
	;; [unrolled: 1-line block ×4, first 2 shown]
.LBB50_16:
	s_or_b32 exec_lo, exec_lo, s3
	s_wait_dscnt 0x0
	s_barrier_signal -1
	s_barrier_wait -1
	s_and_saveexec_b32 s4, s2
	s_cbranch_execz .LBB50_18
; %bb.17:
	v_sub_nc_u32_e64 v6, v0, 4 clamp
	v_min_u32_e32 v7, 59, v0
	ds_load_b64 v[26:27], v5
	ds_load_b64 v[28:29], v15
	v_dual_lshlrev_b32 v17, 3, v6 :: v_dual_lshlrev_b32 v10, 3, v7
	ds_load_2addr_stride64_b64 v[6:9], v17 offset0:40 offset1:41
	s_wait_dscnt 0x0
	v_dual_add_nc_u32 v22, 32, v10 :: v_dual_mul_f32 v34, v9, v9
	ds_load_2addr_stride64_b64 v[10:13], v22 offset0:40 offset1:41
	ds_load_b64 v[30:31], v16
	ds_load_b64 v[32:33], v3
	s_wait_dscnt 0x2
	v_dual_fmac_f32 v34, v8, v8 :: v_dual_mul_f32 v35, v13, v13
	s_delay_alu instid0(VALU_DEP_1) | instskip(SKIP_1) | instid1(VALU_DEP_2)
	v_div_scale_f32 v36, null, v34, v34, 1.0
	v_div_scale_f32 v40, vcc_lo, 1.0, v34, 1.0
	v_rcp_f32_e32 v37, v36
	v_nop
	s_delay_alu instid0(TRANS32_DEP_1) | instskip(NEXT) | instid1(VALU_DEP_1)
	v_fma_f32 v18, -v36, v37, 1.0
	v_dual_fmac_f32 v35, v12, v12 :: v_dual_fmac_f32 v37, v18, v37
	s_delay_alu instid0(VALU_DEP_1) | instskip(SKIP_1) | instid1(VALU_DEP_2)
	v_div_scale_f32 v38, null, v35, v35, 1.0
	v_div_scale_f32 v42, s3, 1.0, v35, 1.0
	v_rcp_f32_e32 v39, v38
	v_nop
	s_delay_alu instid0(TRANS32_DEP_1) | instskip(NEXT) | instid1(VALU_DEP_1)
	v_fma_f32 v18, -v38, v39, 1.0
	v_dual_mul_f32 v41, v40, v37 :: v_dual_fmac_f32 v39, v18, v39
	s_delay_alu instid0(VALU_DEP_1) | instskip(NEXT) | instid1(VALU_DEP_1)
	v_dual_fma_f32 v18, -v36, v41, v40 :: v_dual_mul_f32 v43, v42, v39
	v_fmac_f32_e32 v41, v18, v37
	ds_load_2addr_stride64_b64 v[18:21], v17 offset0:42 offset1:44
	ds_load_2addr_stride64_b64 v[22:25], v22 offset0:42 offset1:44
	v_dual_fma_f32 v44, -v38, v43, v42 :: v_dual_fma_f32 v17, -v36, v41, v40
	s_delay_alu instid0(VALU_DEP_1) | instskip(NEXT) | instid1(VALU_DEP_2)
	v_dual_mul_f32 v36, v9, -v26 :: v_dual_fmac_f32 v43, v44, v39
	v_div_fmas_f32 v17, v17, v37, v41
	s_delay_alu instid0(VALU_DEP_2) | instskip(SKIP_2) | instid1(VALU_DEP_3)
	v_fmac_f32_e32 v36, v27, v8
	s_mov_b32 vcc_lo, s3
	v_dual_mul_f32 v37, v13, -v28 :: v_dual_mul_f32 v13, v13, v29
	v_div_fixup_f32 v17, v17, v34, 1.0
	v_mul_f32_e32 v9, v9, v27
	v_fma_f32 v27, -v38, v43, v42
	s_delay_alu instid0(VALU_DEP_2) | instskip(NEXT) | instid1(VALU_DEP_2)
	v_fmac_f32_e32 v9, v26, v8
	v_div_fmas_f32 v27, v27, v39, v43
	v_mul_f32_e32 v8, v36, v17
	v_fmac_f32_e32 v13, v28, v12
	v_fmac_f32_e32 v37, v29, v12
	v_mul_f32_e32 v12, v17, v9
	v_div_fixup_f32 v29, v27, v35, 1.0
	s_wait_dscnt 0x1
	v_pk_mul_f32 v[26:27], v[8:9], v[18:19] op_sel:[0,1] op_sel_hi:[0,0] neg_lo:[0,1]
	v_pk_mul_f32 v[34:35], v[8:9], v[20:21] op_sel:[0,1] op_sel_hi:[0,0] neg_lo:[0,1]
	v_pk_mul_f32 v[8:9], v[8:9], v[6:7] op_sel:[0,1] op_sel_hi:[0,0] neg_hi:[0,1]
	v_mul_f32_e32 v36, v29, v13
	v_mul_f32_e32 v28, v37, v29
	v_pk_fma_f32 v[18:19], v[18:19], v[12:13], v[26:27] op_sel_hi:[1,0,1]
	v_pk_fma_f32 v[20:21], v[20:21], v[12:13], v[34:35] op_sel_hi:[1,0,1]
	v_pk_fma_f32 v[6:7], v[6:7], v[12:13], v[8:9] op_sel_hi:[1,0,1] neg_lo:[1,0,0] neg_hi:[1,0,0]
	s_delay_alu instid0(VALU_DEP_4)
	v_pk_mul_f32 v[26:27], v[28:29], v[10:11] op_sel:[0,1] op_sel_hi:[0,0] neg_lo:[0,1]
	s_wait_dscnt 0x0
	v_pk_mul_f32 v[34:35], v[28:29], v[24:25] op_sel:[0,1] op_sel_hi:[0,0] neg_lo:[0,1]
	v_pk_add_f32 v[18:19], v[30:31], v[18:19] neg_lo:[0,1] neg_hi:[0,1]
	v_pk_add_f32 v[20:21], v[32:33], v[20:21] neg_lo:[0,1] neg_hi:[0,1]
	v_pk_fma_f32 v[10:11], v[10:11], v[36:37], v[26:27] op_sel_hi:[1,0,1]
	s_delay_alu instid0(VALU_DEP_4) | instskip(SKIP_1) | instid1(VALU_DEP_3)
	v_pk_fma_f32 v[24:25], v[24:25], v[36:37], v[34:35] op_sel_hi:[1,0,1]
	v_pk_mul_f32 v[26:27], v[28:29], v[22:23] op_sel:[0,1] op_sel_hi:[0,0] neg_hi:[0,1]
	v_pk_add_f32 v[8:9], v[18:19], v[10:11] neg_lo:[0,1] neg_hi:[0,1]
	s_delay_alu instid0(VALU_DEP_3) | instskip(NEXT) | instid1(VALU_DEP_3)
	v_pk_add_f32 v[10:11], v[20:21], v[24:25] neg_lo:[0,1] neg_hi:[0,1]
	v_pk_fma_f32 v[12:13], v[22:23], v[36:37], v[26:27] op_sel_hi:[1,0,1] neg_lo:[1,0,0] neg_hi:[1,0,0]
.LBB50_18:
	s_or_b32 exec_lo, exec_lo, s4
	s_barrier_signal -1
	s_barrier_wait -1
	s_and_saveexec_b32 s3, s2
	s_cbranch_execz .LBB50_20
; %bb.19:
	ds_store_b64 v5, v[6:7]
	ds_store_b64 v16, v[8:9]
	;; [unrolled: 1-line block ×4, first 2 shown]
.LBB50_20:
	s_or_b32 exec_lo, exec_lo, s3
	s_wait_dscnt 0x0
	s_barrier_signal -1
	s_barrier_wait -1
	s_and_saveexec_b32 s4, s2
	s_cbranch_execz .LBB50_22
; %bb.21:
	v_sub_nc_u32_e64 v6, v0, 8 clamp
	v_min_u32_e32 v7, 55, v0
	ds_load_b64 v[26:27], v5
	ds_load_b64 v[28:29], v15
	v_dual_lshlrev_b32 v17, 3, v6 :: v_dual_lshlrev_b32 v10, 3, v7
	ds_load_2addr_stride64_b64 v[6:9], v17 offset0:40 offset1:41
	s_wait_dscnt 0x0
	v_dual_add_nc_u32 v22, 64, v10 :: v_dual_mul_f32 v34, v9, v9
	ds_load_2addr_stride64_b64 v[10:13], v22 offset0:40 offset1:41
	ds_load_b64 v[30:31], v16
	ds_load_b64 v[32:33], v3
	s_wait_dscnt 0x2
	v_dual_fmac_f32 v34, v8, v8 :: v_dual_mul_f32 v35, v13, v13
	s_delay_alu instid0(VALU_DEP_1) | instskip(SKIP_1) | instid1(VALU_DEP_2)
	v_div_scale_f32 v36, null, v34, v34, 1.0
	v_div_scale_f32 v40, vcc_lo, 1.0, v34, 1.0
	v_rcp_f32_e32 v37, v36
	v_nop
	s_delay_alu instid0(TRANS32_DEP_1) | instskip(NEXT) | instid1(VALU_DEP_1)
	v_fma_f32 v18, -v36, v37, 1.0
	v_dual_fmac_f32 v35, v12, v12 :: v_dual_fmac_f32 v37, v18, v37
	s_delay_alu instid0(VALU_DEP_1) | instskip(SKIP_1) | instid1(VALU_DEP_2)
	v_div_scale_f32 v38, null, v35, v35, 1.0
	v_div_scale_f32 v42, s3, 1.0, v35, 1.0
	v_rcp_f32_e32 v39, v38
	v_nop
	s_delay_alu instid0(TRANS32_DEP_1) | instskip(NEXT) | instid1(VALU_DEP_1)
	v_fma_f32 v18, -v38, v39, 1.0
	v_dual_mul_f32 v41, v40, v37 :: v_dual_fmac_f32 v39, v18, v39
	s_delay_alu instid0(VALU_DEP_1) | instskip(NEXT) | instid1(VALU_DEP_1)
	v_dual_fma_f32 v18, -v36, v41, v40 :: v_dual_mul_f32 v43, v42, v39
	v_fmac_f32_e32 v41, v18, v37
	ds_load_2addr_stride64_b64 v[18:21], v17 offset0:42 offset1:44
	ds_load_2addr_stride64_b64 v[22:25], v22 offset0:42 offset1:44
	v_dual_fma_f32 v44, -v38, v43, v42 :: v_dual_fma_f32 v17, -v36, v41, v40
	s_delay_alu instid0(VALU_DEP_1) | instskip(NEXT) | instid1(VALU_DEP_2)
	v_dual_mul_f32 v36, v9, -v26 :: v_dual_fmac_f32 v43, v44, v39
	v_div_fmas_f32 v17, v17, v37, v41
	s_delay_alu instid0(VALU_DEP_2) | instskip(SKIP_2) | instid1(VALU_DEP_3)
	v_fmac_f32_e32 v36, v27, v8
	s_mov_b32 vcc_lo, s3
	v_dual_mul_f32 v37, v13, -v28 :: v_dual_mul_f32 v13, v13, v29
	v_div_fixup_f32 v17, v17, v34, 1.0
	v_mul_f32_e32 v9, v9, v27
	v_fma_f32 v27, -v38, v43, v42
	s_delay_alu instid0(VALU_DEP_2) | instskip(NEXT) | instid1(VALU_DEP_2)
	v_fmac_f32_e32 v9, v26, v8
	v_div_fmas_f32 v27, v27, v39, v43
	v_mul_f32_e32 v8, v36, v17
	v_fmac_f32_e32 v13, v28, v12
	v_fmac_f32_e32 v37, v29, v12
	v_mul_f32_e32 v12, v17, v9
	v_div_fixup_f32 v29, v27, v35, 1.0
	s_wait_dscnt 0x1
	v_pk_mul_f32 v[26:27], v[8:9], v[18:19] op_sel:[0,1] op_sel_hi:[0,0] neg_lo:[0,1]
	v_pk_mul_f32 v[34:35], v[8:9], v[20:21] op_sel:[0,1] op_sel_hi:[0,0] neg_lo:[0,1]
	v_pk_mul_f32 v[8:9], v[8:9], v[6:7] op_sel:[0,1] op_sel_hi:[0,0] neg_hi:[0,1]
	v_mul_f32_e32 v36, v29, v13
	v_mul_f32_e32 v28, v37, v29
	v_pk_fma_f32 v[18:19], v[18:19], v[12:13], v[26:27] op_sel_hi:[1,0,1]
	v_pk_fma_f32 v[20:21], v[20:21], v[12:13], v[34:35] op_sel_hi:[1,0,1]
	v_pk_fma_f32 v[6:7], v[6:7], v[12:13], v[8:9] op_sel_hi:[1,0,1] neg_lo:[1,0,0] neg_hi:[1,0,0]
	s_delay_alu instid0(VALU_DEP_4)
	v_pk_mul_f32 v[26:27], v[28:29], v[10:11] op_sel:[0,1] op_sel_hi:[0,0] neg_lo:[0,1]
	s_wait_dscnt 0x0
	v_pk_mul_f32 v[34:35], v[28:29], v[24:25] op_sel:[0,1] op_sel_hi:[0,0] neg_lo:[0,1]
	v_pk_add_f32 v[18:19], v[30:31], v[18:19] neg_lo:[0,1] neg_hi:[0,1]
	v_pk_add_f32 v[20:21], v[32:33], v[20:21] neg_lo:[0,1] neg_hi:[0,1]
	v_pk_fma_f32 v[10:11], v[10:11], v[36:37], v[26:27] op_sel_hi:[1,0,1]
	s_delay_alu instid0(VALU_DEP_4) | instskip(SKIP_1) | instid1(VALU_DEP_3)
	v_pk_fma_f32 v[24:25], v[24:25], v[36:37], v[34:35] op_sel_hi:[1,0,1]
	v_pk_mul_f32 v[26:27], v[28:29], v[22:23] op_sel:[0,1] op_sel_hi:[0,0] neg_hi:[0,1]
	v_pk_add_f32 v[8:9], v[18:19], v[10:11] neg_lo:[0,1] neg_hi:[0,1]
	s_delay_alu instid0(VALU_DEP_3) | instskip(NEXT) | instid1(VALU_DEP_3)
	v_pk_add_f32 v[10:11], v[20:21], v[24:25] neg_lo:[0,1] neg_hi:[0,1]
	v_pk_fma_f32 v[12:13], v[22:23], v[36:37], v[26:27] op_sel_hi:[1,0,1] neg_lo:[1,0,0] neg_hi:[1,0,0]
.LBB50_22:
	s_or_b32 exec_lo, exec_lo, s4
	s_barrier_signal -1
	s_barrier_wait -1
	s_and_saveexec_b32 s3, s2
	s_cbranch_execz .LBB50_24
; %bb.23:
	ds_store_b64 v5, v[6:7]
	ds_store_b64 v16, v[8:9]
	;; [unrolled: 1-line block ×4, first 2 shown]
.LBB50_24:
	s_or_b32 exec_lo, exec_lo, s3
	s_wait_dscnt 0x0
	s_barrier_signal -1
	s_barrier_wait -1
	s_and_saveexec_b32 s4, s2
	s_cbranch_execz .LBB50_26
; %bb.25:
	v_sub_nc_u32_e64 v6, v0, 16 clamp
	v_min_u32_e32 v7, 47, v0
	ds_load_b64 v[26:27], v5
	ds_load_b64 v[28:29], v15
	v_dual_lshlrev_b32 v17, 3, v6 :: v_dual_lshlrev_b32 v10, 3, v7
	ds_load_2addr_stride64_b64 v[6:9], v17 offset0:40 offset1:41
	v_add_nc_u32_e32 v22, 0x80, v10
	ds_load_2addr_stride64_b64 v[10:13], v22 offset0:40 offset1:41
	ds_load_b64 v[30:31], v16
	ds_load_b64 v[32:33], v3
	s_wait_dscnt 0x2
	v_mul_f32_e32 v35, v13, v13
	s_delay_alu instid0(VALU_DEP_1) | instskip(NEXT) | instid1(VALU_DEP_1)
	v_dual_mul_f32 v34, v9, v9 :: v_dual_fmac_f32 v35, v12, v12
	v_fmac_f32_e32 v34, v8, v8
	s_delay_alu instid0(VALU_DEP_2) | instskip(NEXT) | instid1(VALU_DEP_2)
	v_div_scale_f32 v38, null, v35, v35, 1.0
	v_div_scale_f32 v36, null, v34, v34, 1.0
	v_div_scale_f32 v42, s3, 1.0, v35, 1.0
	s_delay_alu instid0(VALU_DEP_3) | instskip(NEXT) | instid1(VALU_DEP_2)
	v_rcp_f32_e32 v39, v38
	v_rcp_f32_e32 v37, v36
	v_nop
	s_delay_alu instid0(TRANS32_DEP_1) | instskip(NEXT) | instid1(VALU_DEP_1)
	v_fma_f32 v18, -v36, v37, 1.0
	v_fmac_f32_e32 v37, v18, v37
	v_div_scale_f32 v40, vcc_lo, 1.0, v34, 1.0
	s_delay_alu instid0(TRANS32_DEP_2) | instskip(NEXT) | instid1(VALU_DEP_1)
	v_fma_f32 v18, -v38, v39, 1.0
	v_dual_mul_f32 v41, v40, v37 :: v_dual_fmac_f32 v39, v18, v39
	s_delay_alu instid0(VALU_DEP_1) | instskip(NEXT) | instid1(VALU_DEP_1)
	v_dual_fma_f32 v18, -v36, v41, v40 :: v_dual_mul_f32 v43, v42, v39
	v_fmac_f32_e32 v41, v18, v37
	ds_load_2addr_stride64_b64 v[18:21], v17 offset0:42 offset1:44
	ds_load_2addr_stride64_b64 v[22:25], v22 offset0:42 offset1:44
	v_dual_fma_f32 v44, -v38, v43, v42 :: v_dual_fma_f32 v17, -v36, v41, v40
	s_delay_alu instid0(VALU_DEP_1) | instskip(NEXT) | instid1(VALU_DEP_2)
	v_dual_mul_f32 v36, v9, -v26 :: v_dual_fmac_f32 v43, v44, v39
	v_div_fmas_f32 v17, v17, v37, v41
	s_delay_alu instid0(VALU_DEP_2) | instskip(SKIP_2) | instid1(VALU_DEP_3)
	v_fmac_f32_e32 v36, v27, v8
	s_mov_b32 vcc_lo, s3
	v_dual_mul_f32 v37, v13, -v28 :: v_dual_mul_f32 v13, v13, v29
	v_div_fixup_f32 v17, v17, v34, 1.0
	v_mul_f32_e32 v9, v9, v27
	v_fma_f32 v27, -v38, v43, v42
	s_delay_alu instid0(VALU_DEP_2) | instskip(NEXT) | instid1(VALU_DEP_2)
	v_fmac_f32_e32 v9, v26, v8
	v_div_fmas_f32 v27, v27, v39, v43
	v_mul_f32_e32 v8, v36, v17
	v_fmac_f32_e32 v13, v28, v12
	v_fmac_f32_e32 v37, v29, v12
	v_mul_f32_e32 v12, v17, v9
	v_div_fixup_f32 v29, v27, v35, 1.0
	s_wait_dscnt 0x1
	v_pk_mul_f32 v[26:27], v[8:9], v[18:19] op_sel:[0,1] op_sel_hi:[0,0] neg_lo:[0,1]
	v_pk_mul_f32 v[34:35], v[8:9], v[20:21] op_sel:[0,1] op_sel_hi:[0,0] neg_lo:[0,1]
	v_pk_mul_f32 v[8:9], v[8:9], v[6:7] op_sel:[0,1] op_sel_hi:[0,0] neg_hi:[0,1]
	v_mul_f32_e32 v36, v29, v13
	v_mul_f32_e32 v28, v37, v29
	v_pk_fma_f32 v[18:19], v[18:19], v[12:13], v[26:27] op_sel_hi:[1,0,1]
	v_pk_fma_f32 v[20:21], v[20:21], v[12:13], v[34:35] op_sel_hi:[1,0,1]
	v_pk_fma_f32 v[6:7], v[6:7], v[12:13], v[8:9] op_sel_hi:[1,0,1] neg_lo:[1,0,0] neg_hi:[1,0,0]
	s_delay_alu instid0(VALU_DEP_4)
	v_pk_mul_f32 v[26:27], v[28:29], v[10:11] op_sel:[0,1] op_sel_hi:[0,0] neg_lo:[0,1]
	s_wait_dscnt 0x0
	v_pk_mul_f32 v[34:35], v[28:29], v[24:25] op_sel:[0,1] op_sel_hi:[0,0] neg_lo:[0,1]
	v_pk_add_f32 v[18:19], v[30:31], v[18:19] neg_lo:[0,1] neg_hi:[0,1]
	v_pk_add_f32 v[20:21], v[32:33], v[20:21] neg_lo:[0,1] neg_hi:[0,1]
	v_pk_fma_f32 v[10:11], v[10:11], v[36:37], v[26:27] op_sel_hi:[1,0,1]
	s_delay_alu instid0(VALU_DEP_4) | instskip(SKIP_1) | instid1(VALU_DEP_3)
	v_pk_fma_f32 v[24:25], v[24:25], v[36:37], v[34:35] op_sel_hi:[1,0,1]
	v_pk_mul_f32 v[26:27], v[28:29], v[22:23] op_sel:[0,1] op_sel_hi:[0,0] neg_hi:[0,1]
	v_pk_add_f32 v[8:9], v[18:19], v[10:11] neg_lo:[0,1] neg_hi:[0,1]
	s_delay_alu instid0(VALU_DEP_3) | instskip(NEXT) | instid1(VALU_DEP_3)
	v_pk_add_f32 v[10:11], v[20:21], v[24:25] neg_lo:[0,1] neg_hi:[0,1]
	v_pk_fma_f32 v[12:13], v[22:23], v[36:37], v[26:27] op_sel_hi:[1,0,1] neg_lo:[1,0,0] neg_hi:[1,0,0]
.LBB50_26:
	s_or_b32 exec_lo, exec_lo, s4
	s_barrier_signal -1
	s_barrier_wait -1
	s_and_saveexec_b32 s3, s2
	s_cbranch_execz .LBB50_28
; %bb.27:
	ds_store_b64 v5, v[6:7]
	ds_store_b64 v16, v[8:9]
	;; [unrolled: 1-line block ×4, first 2 shown]
.LBB50_28:
	s_or_b32 exec_lo, exec_lo, s3
	s_delay_alu instid0(SALU_CYCLE_1)
	s_mov_b32 s3, exec_lo
	s_wait_dscnt 0x0
	s_barrier_signal -1
	s_barrier_wait -1
	v_cmpx_gt_u32_e32 32, v0
	s_cbranch_execz .LBB50_30
; %bb.29:
	ds_load_2addr_b64 v[6:9], v16 offset1:32
	ds_load_b64 v[10:11], v15
	ds_load_b32 v12, v3
	ds_load_b64 v[16:17], v3
	ds_load_b64 v[18:19], v5 offset:256
	s_wait_dscnt 0x4
	v_pk_mul_f32 v[20:21], v[6:7], v[8:9] op_sel:[1,1] op_sel_hi:[1,0] neg_lo:[0,1]
	s_wait_dscnt 0x0
	v_pk_mul_f32 v[22:23], v[18:19], v[10:11] op_sel:[1,1] op_sel_hi:[1,0] neg_lo:[0,1]
	s_delay_alu instid0(VALU_DEP_2) | instskip(SKIP_1) | instid1(VALU_DEP_3)
	v_pk_fma_f32 v[20:21], v[8:9], v[6:7], v[20:21] op_sel_hi:[1,0,1]
	v_pk_mul_f32 v[32:33], v[18:19], v[16:17] op_sel:[1,1] op_sel_hi:[1,0] neg_lo:[0,1]
	v_pk_fma_f32 v[22:23], v[10:11], v[18:19], v[22:23] op_sel_hi:[1,0,1]
	s_delay_alu instid0(VALU_DEP_1) | instskip(SKIP_4) | instid1(VALU_DEP_1)
	v_pk_add_f32 v[20:21], v[20:21], v[22:23] neg_lo:[0,1] neg_hi:[0,1]
	ds_load_2addr_b32 v[22:23], v3 offset0:1 offset1:64
	ds_load_b32 v24, v3 offset:260
	ds_load_b64 v[26:27], v3 offset:256
	v_mul_f32_e32 v5, v21, v21
	v_fmac_f32_e32 v5, v20, v20
	s_delay_alu instid0(VALU_DEP_1) | instskip(SKIP_2) | instid1(VALU_DEP_2)
	v_div_scale_f32 v13, null, v5, v5, 1.0
	s_wait_dscnt 0x2
	v_pk_mul_f32 v[28:29], v[22:23], v[8:9] op_sel:[0,1] op_sel_hi:[0,0] neg_lo:[0,1]
	v_rcp_f32_e32 v15, v13
	v_mov_b32_e32 v22, v23
	s_delay_alu instid0(TRANS32_DEP_1) | instskip(NEXT) | instid1(VALU_DEP_1)
	v_fma_f32 v25, -v13, v15, 1.0
	v_fmac_f32_e32 v15, v25, v15
	v_div_scale_f32 v30, vcc_lo, 1.0, v5, 1.0
	s_delay_alu instid0(VALU_DEP_1) | instskip(NEXT) | instid1(VALU_DEP_1)
	v_mul_f32_e32 v3, v30, v15
	v_fma_f32 v25, -v13, v3, v30
	s_delay_alu instid0(VALU_DEP_1) | instskip(SKIP_2) | instid1(VALU_DEP_2)
	v_fmac_f32_e32 v3, v25, v15
	s_wait_dscnt 0x1
	v_pk_mul_f32 v[24:25], v[24:25], v[10:11] op_sel:[0,1] op_sel_hi:[0,0] neg_lo:[0,1]
	v_fma_f32 v13, -v13, v3, v30
	s_wait_dscnt 0x0
	v_pk_mul_f32 v[30:31], v[6:7], v[26:27] op_sel:[1,1] op_sel_hi:[1,0] neg_lo:[0,1]
	s_delay_alu instid0(VALU_DEP_3) | instskip(NEXT) | instid1(VALU_DEP_3)
	v_pk_fma_f32 v[10:11], v[10:11], v[22:23], v[24:25] op_sel_hi:[1,0,1]
	v_div_fmas_f32 v3, v13, v15, v3
	v_pk_fma_f32 v[8:9], v[8:9], v[12:13], v[28:29] op_sel_hi:[1,0,1]
	s_delay_alu instid0(VALU_DEP_4)
	v_pk_fma_f32 v[6:7], v[26:27], v[6:7], v[30:31] op_sel_hi:[1,0,1]
	v_fma_f32 v15, v20, 0, -v21
	v_pk_fma_f32 v[12:13], v[16:17], v[18:19], v[32:33] op_sel_hi:[1,0,1]
	v_div_fixup_f32 v3, v3, v5, 1.0
	v_pk_add_f32 v[8:9], v[8:9], v[10:11] neg_lo:[0,1] neg_hi:[0,1]
	v_fma_f32 v5, 0, v21, v20
	s_delay_alu instid0(VALU_DEP_4) | instskip(NEXT) | instid1(VALU_DEP_2)
	v_pk_add_f32 v[6:7], v[6:7], v[12:13] neg_lo:[0,1] neg_hi:[0,1]
	v_dual_mul_f32 v10, v15, v3 :: v_dual_mul_f32 v12, v5, v3
	v_add_nc_u32_e32 v3, 0x5000, v14
	s_delay_alu instid0(VALU_DEP_2) | instskip(NEXT) | instid1(VALU_DEP_4)
	v_pk_mul_f32 v[16:17], v[10:11], v[8:9] op_sel:[0,1] op_sel_hi:[0,0] neg_lo:[0,1]
	v_pk_mul_f32 v[10:11], v[10:11], v[6:7] op_sel:[0,1] op_sel_hi:[0,0] neg_lo:[0,1]
	s_delay_alu instid0(VALU_DEP_2) | instskip(NEXT) | instid1(VALU_DEP_2)
	v_pk_fma_f32 v[8:9], v[8:9], v[12:13], v[16:17] op_sel_hi:[1,0,1]
	v_pk_fma_f32 v[6:7], v[6:7], v[12:13], v[10:11] op_sel_hi:[1,0,1]
	ds_store_2addr_b64 v3, v[8:9], v[6:7] offset0:192 offset1:224
.LBB50_30:
	s_or_b32 exec_lo, exec_lo, s3
	v_dual_ashrrev_i32 v3, 31, v2 :: v_dual_mov_b32 v5, 0
	s_wait_dscnt 0x0
	s_barrier_signal -1
	s_barrier_wait -1
	s_and_saveexec_b32 s3, s2
	s_cbranch_execz .LBB50_32
; %bb.31:
	ds_load_b64 v[6:7], v14 offset:22016
	s_wait_dscnt 0x0
	ds_store_b64 v1, v[6:7] offset:12280
.LBB50_32:
	s_or_b32 exec_lo, exec_lo, s3
	s_wait_dscnt 0x0
	s_barrier_signal -1
	s_barrier_wait -1
	s_and_saveexec_b32 s3, s2
	s_cbranch_execz .LBB50_38
; %bb.33:
	v_lshl_or_b32 v8, v0, 6, 0x4000
	v_lshlrev_b32_e32 v1, 3, v14
	s_mov_b32 s2, exec_lo
                                        ; implicit-def: $vgpr6_vgpr7
	v_cmpx_ne_u32_e32 0, v0
	s_xor_b32 s2, exec_lo, s2
	s_cbranch_execz .LBB50_35
; %bb.34:
	v_add_nc_u32_e32 v6, 24, v1
	ds_load_b64 v[8:9], v8 offset:24
	ds_load_2addr_stride64_b64 v[10:13], v6 offset1:8
	v_add_nc_u32_e32 v6, 0x2c00, v1
	ds_load_2addr_b64 v[16:19], v6 offset0:127 offset1:135
	ds_load_b64 v[6:7], v1 offset:8216
	s_wait_dscnt 0x2
	v_mul_f32_e32 v15, v13, v13
	s_delay_alu instid0(VALU_DEP_1) | instskip(SKIP_2) | instid1(VALU_DEP_2)
	v_fmac_f32_e32 v15, v12, v12
	s_wait_dscnt 0x0
	v_pk_mul_f32 v[22:23], v[18:19], v[6:7] op_sel:[1,1] op_sel_hi:[1,0] neg_lo:[0,1]
	v_div_scale_f32 v24, null, v15, v15, 1.0
	v_div_scale_f32 v26, vcc_lo, 1.0, v15, 1.0
	s_delay_alu instid0(VALU_DEP_3) | instskip(NEXT) | instid1(VALU_DEP_3)
	v_pk_fma_f32 v[6:7], v[6:7], v[18:19], v[22:23] op_sel_hi:[1,0,1]
	v_rcp_f32_e32 v25, v24
	v_nop
	s_delay_alu instid0(TRANS32_DEP_1) | instskip(NEXT) | instid1(VALU_DEP_1)
	v_fma_f32 v20, -v24, v25, 1.0
	v_fmac_f32_e32 v25, v20, v25
	v_pk_mul_f32 v[20:21], v[16:17], v[10:11] op_sel:[1,1] op_sel_hi:[1,0] neg_lo:[0,1]
	s_delay_alu instid0(VALU_DEP_2) | instskip(NEXT) | instid1(VALU_DEP_2)
	v_mul_f32_e32 v27, v26, v25
	v_pk_fma_f32 v[10:11], v[10:11], v[16:17], v[20:21] op_sel_hi:[1,0,1]
	s_delay_alu instid0(VALU_DEP_2) | instskip(NEXT) | instid1(VALU_DEP_2)
	v_fma_f32 v28, -v24, v27, v26
	v_pk_add_f32 v[8:9], v[8:9], v[10:11] neg_lo:[0,1] neg_hi:[0,1]
	s_delay_alu instid0(VALU_DEP_2) | instskip(NEXT) | instid1(VALU_DEP_2)
	v_fmac_f32_e32 v27, v28, v25
	v_pk_add_f32 v[6:7], v[8:9], v[6:7] neg_lo:[0,1] neg_hi:[0,1]
	s_delay_alu instid0(VALU_DEP_2) | instskip(NEXT) | instid1(VALU_DEP_2)
	v_fma_f32 v10, -v24, v27, v26
	v_pk_mul_f32 v[8:9], v[12:13], v[6:7] op_sel:[1,1] op_sel_hi:[1,0] neg_hi:[0,1]
	s_delay_alu instid0(VALU_DEP_2) | instskip(NEXT) | instid1(VALU_DEP_2)
	v_div_fmas_f32 v10, v10, v25, v27
	v_pk_fma_f32 v[6:7], v[6:7], v[12:13], v[8:9] op_sel_hi:[1,0,1]
                                        ; implicit-def: $vgpr8
	s_delay_alu instid0(VALU_DEP_2) | instskip(NEXT) | instid1(VALU_DEP_1)
	v_div_fixup_f32 v10, v10, v15, 1.0
	v_pk_mul_f32 v[6:7], v[10:11], v[6:7] op_sel_hi:[0,1]
.LBB50_35:
	s_and_not1_saveexec_b32 s2, s2
	s_cbranch_execz .LBB50_37
; %bb.36:
	v_add_nc_u32_e32 v6, 24, v1
	ds_load_2addr_stride64_b64 v[10:13], v6 offset0:8 offset1:16
	ds_load_b64 v[6:7], v1 offset:12344
	s_wait_dscnt 0x1
	v_mul_f32_e32 v15, v11, v11
	s_delay_alu instid0(VALU_DEP_1) | instskip(NEXT) | instid1(VALU_DEP_1)
	v_fmac_f32_e32 v15, v10, v10
	v_div_scale_f32 v18, null, v15, v15, 1.0
	v_div_scale_f32 v20, vcc_lo, 1.0, v15, 1.0
	s_delay_alu instid0(VALU_DEP_2) | instskip(SKIP_1) | instid1(TRANS32_DEP_1)
	v_rcp_f32_e32 v19, v18
	v_nop
	v_fma_f32 v9, -v18, v19, 1.0
	s_delay_alu instid0(VALU_DEP_1) | instskip(SKIP_4) | instid1(VALU_DEP_2)
	v_fmac_f32_e32 v19, v9, v19
	ds_load_b64 v[8:9], v8 offset:24
	s_wait_dscnt 0x1
	v_pk_mul_f32 v[16:17], v[6:7], v[12:13] op_sel:[1,1] op_sel_hi:[1,0] neg_lo:[0,1]
	v_mul_f32_e32 v21, v20, v19
	v_pk_fma_f32 v[6:7], v[12:13], v[6:7], v[16:17] op_sel_hi:[1,0,1]
	s_delay_alu instid0(VALU_DEP_2) | instskip(NEXT) | instid1(VALU_DEP_1)
	v_fma_f32 v22, -v18, v21, v20
	v_fmac_f32_e32 v21, v22, v19
	s_delay_alu instid0(VALU_DEP_1) | instskip(SKIP_2) | instid1(VALU_DEP_2)
	v_fma_f32 v12, -v18, v21, v20
	s_wait_dscnt 0x0
	v_pk_add_f32 v[6:7], v[8:9], v[6:7] neg_lo:[0,1] neg_hi:[0,1]
	v_div_fmas_f32 v12, v12, v19, v21
	s_delay_alu instid0(VALU_DEP_2) | instskip(NEXT) | instid1(VALU_DEP_2)
	v_pk_mul_f32 v[8:9], v[10:11], v[6:7] op_sel:[1,1] op_sel_hi:[1,0] neg_hi:[0,1]
	v_div_fixup_f32 v12, v12, v15, 1.0
	s_delay_alu instid0(VALU_DEP_2) | instskip(NEXT) | instid1(VALU_DEP_1)
	v_pk_fma_f32 v[6:7], v[6:7], v[10:11], v[8:9] op_sel_hi:[1,0,1]
	v_pk_mul_f32 v[6:7], v[12:13], v[6:7] op_sel_hi:[0,1]
.LBB50_37:
	s_or_b32 exec_lo, exec_lo, s2
	ds_store_b64 v1, v[6:7] offset:12312
.LBB50_38:
	s_or_b32 exec_lo, exec_lo, s3
	v_lshl_add_u64 v[2:3], v[2:3], 3, s[10:11]
	v_lshl_add_u64 v[4:5], v[4:5], 3, s[10:11]
	s_wait_dscnt 0x0
	s_barrier_signal -1
	s_barrier_wait -1
	s_and_saveexec_b32 s2, s1
	s_cbranch_execz .LBB50_44
; %bb.39:
	v_lshlrev_b32_e32 v1, 2, v0
	v_lshl_or_b32 v8, v0, 5, 0x4000
	s_mov_b32 s1, exec_lo
                                        ; implicit-def: $vgpr6_vgpr7
	s_delay_alu instid0(VALU_DEP_2)
	v_lshlrev_b32_e32 v1, 3, v1
	v_cmpx_ne_u32_e32 0, v0
	s_xor_b32 s1, exec_lo, s1
	s_cbranch_execz .LBB50_41
; %bb.40:
	s_delay_alu instid0(VALU_DEP_2)
	v_add_nc_u32_e32 v6, 8, v1
	ds_load_b64 v[8:9], v8 offset:8
	ds_load_2addr_stride64_b64 v[10:13], v6 offset1:8
	v_add_nc_u32_e32 v6, 0x2c00, v1
	ds_load_2addr_b64 v[16:19], v6 offset0:127 offset1:131
	ds_load_b64 v[6:7], v1 offset:8200
	s_wait_dscnt 0x2
	v_mul_f32_e32 v15, v13, v13
	s_delay_alu instid0(VALU_DEP_1) | instskip(SKIP_2) | instid1(VALU_DEP_2)
	v_fmac_f32_e32 v15, v12, v12
	s_wait_dscnt 0x0
	v_pk_mul_f32 v[22:23], v[18:19], v[6:7] op_sel:[1,1] op_sel_hi:[1,0] neg_lo:[0,1]
	v_div_scale_f32 v24, null, v15, v15, 1.0
	v_div_scale_f32 v26, vcc_lo, 1.0, v15, 1.0
	s_delay_alu instid0(VALU_DEP_3) | instskip(NEXT) | instid1(VALU_DEP_3)
	v_pk_fma_f32 v[6:7], v[6:7], v[18:19], v[22:23] op_sel_hi:[1,0,1]
	v_rcp_f32_e32 v25, v24
	v_nop
	s_delay_alu instid0(TRANS32_DEP_1) | instskip(NEXT) | instid1(VALU_DEP_1)
	v_fma_f32 v20, -v24, v25, 1.0
	v_fmac_f32_e32 v25, v20, v25
	v_pk_mul_f32 v[20:21], v[16:17], v[10:11] op_sel:[1,1] op_sel_hi:[1,0] neg_lo:[0,1]
	s_delay_alu instid0(VALU_DEP_2) | instskip(NEXT) | instid1(VALU_DEP_2)
	v_mul_f32_e32 v27, v26, v25
	v_pk_fma_f32 v[10:11], v[10:11], v[16:17], v[20:21] op_sel_hi:[1,0,1]
	s_delay_alu instid0(VALU_DEP_2) | instskip(NEXT) | instid1(VALU_DEP_2)
	v_fma_f32 v28, -v24, v27, v26
	v_pk_add_f32 v[8:9], v[8:9], v[10:11] neg_lo:[0,1] neg_hi:[0,1]
	s_delay_alu instid0(VALU_DEP_2) | instskip(NEXT) | instid1(VALU_DEP_2)
	v_fmac_f32_e32 v27, v28, v25
	v_pk_add_f32 v[6:7], v[8:9], v[6:7] neg_lo:[0,1] neg_hi:[0,1]
	s_delay_alu instid0(VALU_DEP_2) | instskip(NEXT) | instid1(VALU_DEP_2)
	v_fma_f32 v10, -v24, v27, v26
	v_pk_mul_f32 v[8:9], v[12:13], v[6:7] op_sel:[1,1] op_sel_hi:[1,0] neg_hi:[0,1]
	s_delay_alu instid0(VALU_DEP_2) | instskip(NEXT) | instid1(VALU_DEP_2)
	v_div_fmas_f32 v10, v10, v25, v27
	v_pk_fma_f32 v[6:7], v[6:7], v[12:13], v[8:9] op_sel_hi:[1,0,1]
                                        ; implicit-def: $vgpr8
	s_delay_alu instid0(VALU_DEP_2) | instskip(NEXT) | instid1(VALU_DEP_1)
	v_div_fixup_f32 v10, v10, v15, 1.0
	v_pk_mul_f32 v[6:7], v[10:11], v[6:7] op_sel_hi:[0,1]
.LBB50_41:
	s_and_not1_saveexec_b32 s1, s1
	s_cbranch_execz .LBB50_43
; %bb.42:
	v_add_nc_u32_e32 v6, 8, v1
	ds_load_2addr_stride64_b64 v[10:13], v6 offset0:8 offset1:16
	ds_load_b64 v[6:7], v1 offset:12312
	s_wait_dscnt 0x1
	v_mul_f32_e32 v15, v11, v11
	s_delay_alu instid0(VALU_DEP_1) | instskip(NEXT) | instid1(VALU_DEP_1)
	v_fmac_f32_e32 v15, v10, v10
	v_div_scale_f32 v18, null, v15, v15, 1.0
	v_div_scale_f32 v20, vcc_lo, 1.0, v15, 1.0
	s_delay_alu instid0(VALU_DEP_2) | instskip(SKIP_1) | instid1(TRANS32_DEP_1)
	v_rcp_f32_e32 v19, v18
	v_nop
	v_fma_f32 v9, -v18, v19, 1.0
	s_delay_alu instid0(VALU_DEP_1) | instskip(SKIP_4) | instid1(VALU_DEP_2)
	v_fmac_f32_e32 v19, v9, v19
	ds_load_b64 v[8:9], v8 offset:8
	s_wait_dscnt 0x1
	v_pk_mul_f32 v[16:17], v[6:7], v[12:13] op_sel:[1,1] op_sel_hi:[1,0] neg_lo:[0,1]
	v_mul_f32_e32 v21, v20, v19
	v_pk_fma_f32 v[6:7], v[12:13], v[6:7], v[16:17] op_sel_hi:[1,0,1]
	s_delay_alu instid0(VALU_DEP_2) | instskip(NEXT) | instid1(VALU_DEP_1)
	v_fma_f32 v22, -v18, v21, v20
	v_fmac_f32_e32 v21, v22, v19
	s_delay_alu instid0(VALU_DEP_1) | instskip(SKIP_2) | instid1(VALU_DEP_2)
	v_fma_f32 v12, -v18, v21, v20
	s_wait_dscnt 0x0
	v_pk_add_f32 v[6:7], v[8:9], v[6:7] neg_lo:[0,1] neg_hi:[0,1]
	v_div_fmas_f32 v12, v12, v19, v21
	s_delay_alu instid0(VALU_DEP_2) | instskip(NEXT) | instid1(VALU_DEP_2)
	v_pk_mul_f32 v[8:9], v[10:11], v[6:7] op_sel:[1,1] op_sel_hi:[1,0] neg_hi:[0,1]
	v_div_fixup_f32 v12, v12, v15, 1.0
	s_delay_alu instid0(VALU_DEP_2) | instskip(NEXT) | instid1(VALU_DEP_1)
	v_pk_fma_f32 v[6:7], v[6:7], v[10:11], v[8:9] op_sel_hi:[1,0,1]
	v_pk_mul_f32 v[6:7], v[12:13], v[6:7] op_sel_hi:[0,1]
.LBB50_43:
	s_or_b32 exec_lo, exec_lo, s1
	ds_store_b64 v1, v[6:7] offset:12296
.LBB50_44:
	s_or_b32 exec_lo, exec_lo, s2
	s_wait_dscnt 0x0
	s_barrier_signal -1
	s_barrier_wait -1
	s_and_saveexec_b32 s1, s0
	s_cbranch_execz .LBB50_50
; %bb.45:
	v_lshlrev_b32_e32 v1, 1, v0
	v_cmp_ne_u32_e32 vcc_lo, 0, v0
	v_lshl_or_b32 v7, v0, 4, 0x4000
	s_delay_alu instid0(VALU_DEP_3) | instskip(SKIP_1) | instid1(SALU_CYCLE_1)
	v_lshlrev_b32_e32 v6, 3, v1
                                        ; implicit-def: $vgpr0_vgpr1
	s_and_saveexec_b32 s0, vcc_lo
	s_xor_b32 s0, exec_lo, s0
	s_cbranch_execz .LBB50_47
; %bb.46:
	ds_load_2addr_stride64_b64 v[8:11], v6 offset1:8
	v_add_nc_u32_e32 v0, 0x2c00, v6
	ds_load_b64 v[12:13], v7
	ds_load_2addr_b64 v[16:19], v0 offset0:127 offset1:129
	ds_load_b64 v[0:1], v6 offset:8192
	s_wait_dscnt 0x3
	v_mul_f32_e32 v15, v11, v11
	s_delay_alu instid0(VALU_DEP_1) | instskip(SKIP_2) | instid1(VALU_DEP_2)
	v_fmac_f32_e32 v15, v10, v10
	s_wait_dscnt 0x0
	v_pk_mul_f32 v[22:23], v[18:19], v[0:1] op_sel:[1,1] op_sel_hi:[1,0] neg_lo:[0,1]
	v_div_scale_f32 v24, null, v15, v15, 1.0
	s_delay_alu instid0(VALU_DEP_2) | instskip(NEXT) | instid1(VALU_DEP_2)
	v_pk_fma_f32 v[0:1], v[0:1], v[18:19], v[22:23] op_sel_hi:[1,0,1]
	v_rcp_f32_e32 v25, v24
	v_nop
	s_delay_alu instid0(TRANS32_DEP_1) | instskip(NEXT) | instid1(VALU_DEP_1)
	v_fma_f32 v20, -v24, v25, 1.0
	v_fmac_f32_e32 v25, v20, v25
	v_div_scale_f32 v7, vcc_lo, 1.0, v15, 1.0
	v_pk_mul_f32 v[20:21], v[16:17], v[8:9] op_sel:[1,1] op_sel_hi:[1,0] neg_lo:[0,1]
	s_delay_alu instid0(VALU_DEP_2) | instskip(NEXT) | instid1(VALU_DEP_2)
	v_mul_f32_e32 v26, v7, v25
	v_pk_fma_f32 v[8:9], v[8:9], v[16:17], v[20:21] op_sel_hi:[1,0,1]
	s_delay_alu instid0(VALU_DEP_2) | instskip(NEXT) | instid1(VALU_DEP_2)
	v_fma_f32 v27, -v24, v26, v7
	v_pk_add_f32 v[8:9], v[12:13], v[8:9] neg_lo:[0,1] neg_hi:[0,1]
	s_delay_alu instid0(VALU_DEP_2) | instskip(NEXT) | instid1(VALU_DEP_2)
	v_fmac_f32_e32 v26, v27, v25
	v_pk_add_f32 v[0:1], v[8:9], v[0:1] neg_lo:[0,1] neg_hi:[0,1]
	s_delay_alu instid0(VALU_DEP_2) | instskip(NEXT) | instid1(VALU_DEP_2)
	v_fma_f32 v7, -v24, v26, v7
	v_pk_mul_f32 v[8:9], v[10:11], v[0:1] op_sel:[1,1] op_sel_hi:[1,0] neg_hi:[0,1]
	s_delay_alu instid0(VALU_DEP_2) | instskip(NEXT) | instid1(VALU_DEP_2)
	v_div_fmas_f32 v7, v7, v25, v26
	v_pk_fma_f32 v[0:1], v[0:1], v[10:11], v[8:9] op_sel_hi:[1,0,1]
	s_delay_alu instid0(VALU_DEP_2) | instskip(NEXT) | instid1(VALU_DEP_1)
	v_div_fixup_f32 v12, v7, v15, 1.0
                                        ; implicit-def: $vgpr7
	v_pk_mul_f32 v[0:1], v[12:13], v[0:1] op_sel_hi:[0,1]
.LBB50_47:
	s_and_not1_saveexec_b32 s0, s0
	s_cbranch_execz .LBB50_49
; %bb.48:
	ds_load_2addr_stride64_b64 v[8:11], v6 offset0:8 offset1:16
	ds_load_b64 v[0:1], v6 offset:12296
	s_wait_dscnt 0x1
	v_mul_f32_e32 v15, v9, v9
	s_delay_alu instid0(VALU_DEP_1) | instskip(NEXT) | instid1(VALU_DEP_1)
	v_fmac_f32_e32 v15, v8, v8
	v_div_scale_f32 v18, null, v15, v15, 1.0
	v_div_scale_f32 v20, vcc_lo, 1.0, v15, 1.0
	s_delay_alu instid0(VALU_DEP_2) | instskip(SKIP_1) | instid1(TRANS32_DEP_1)
	v_rcp_f32_e32 v19, v18
	v_nop
	v_fma_f32 v12, -v18, v19, 1.0
	s_delay_alu instid0(VALU_DEP_1) | instskip(SKIP_4) | instid1(VALU_DEP_2)
	v_fmac_f32_e32 v19, v12, v19
	ds_load_b64 v[12:13], v7
	s_wait_dscnt 0x1
	v_pk_mul_f32 v[16:17], v[0:1], v[10:11] op_sel:[1,1] op_sel_hi:[1,0] neg_lo:[0,1]
	v_mul_f32_e32 v7, v20, v19
	v_pk_fma_f32 v[0:1], v[10:11], v[0:1], v[16:17] op_sel_hi:[1,0,1]
	s_delay_alu instid0(VALU_DEP_2) | instskip(NEXT) | instid1(VALU_DEP_1)
	v_fma_f32 v21, -v18, v7, v20
	v_fmac_f32_e32 v7, v21, v19
	s_delay_alu instid0(VALU_DEP_1) | instskip(SKIP_2) | instid1(VALU_DEP_2)
	v_fma_f32 v10, -v18, v7, v20
	s_wait_dscnt 0x0
	v_pk_add_f32 v[0:1], v[12:13], v[0:1] neg_lo:[0,1] neg_hi:[0,1]
	v_div_fmas_f32 v7, v10, v19, v7
	s_delay_alu instid0(VALU_DEP_2) | instskip(NEXT) | instid1(VALU_DEP_2)
	v_pk_mul_f32 v[10:11], v[8:9], v[0:1] op_sel:[1,1] op_sel_hi:[1,0] neg_hi:[0,1]
	v_div_fixup_f32 v12, v7, v15, 1.0
	s_delay_alu instid0(VALU_DEP_2) | instskip(NEXT) | instid1(VALU_DEP_1)
	v_pk_fma_f32 v[0:1], v[0:1], v[8:9], v[10:11] op_sel_hi:[1,0,1]
	v_pk_mul_f32 v[0:1], v[12:13], v[0:1] op_sel_hi:[0,1]
.LBB50_49:
	s_or_b32 exec_lo, exec_lo, s0
	ds_store_b64 v6, v[0:1] offset:12288
.LBB50_50:
	s_or_b32 exec_lo, exec_lo, s1
	s_wait_dscnt 0x0
	s_barrier_signal -1
	s_barrier_wait -1
	ds_load_2addr_stride64_b64 v[6:9], v14 offset0:24 offset1:28
	s_wait_dscnt 0x0
	s_clause 0x1
	global_store_b64 v[2:3], v[6:7], off
	global_store_b64 v[4:5], v[8:9], off
	s_endpgm
	.section	.rodata,"a",@progbits
	.p2align	6, 0x0
	.amdhsa_kernel _ZN9rocsparseL51gtsv_nopivot_strided_batch_crpcr_pow2_shared_kernelILj256ELj64E21rocsparse_complex_numIfEEEviiiPKT1_S5_S5_PS3_
		.amdhsa_group_segment_fixed_size 23040
		.amdhsa_private_segment_fixed_size 0
		.amdhsa_kernarg_size 48
		.amdhsa_user_sgpr_count 2
		.amdhsa_user_sgpr_dispatch_ptr 0
		.amdhsa_user_sgpr_queue_ptr 0
		.amdhsa_user_sgpr_kernarg_segment_ptr 1
		.amdhsa_user_sgpr_dispatch_id 0
		.amdhsa_user_sgpr_kernarg_preload_length 0
		.amdhsa_user_sgpr_kernarg_preload_offset 0
		.amdhsa_user_sgpr_private_segment_size 0
		.amdhsa_wavefront_size32 1
		.amdhsa_uses_dynamic_stack 0
		.amdhsa_enable_private_segment 0
		.amdhsa_system_sgpr_workgroup_id_x 1
		.amdhsa_system_sgpr_workgroup_id_y 0
		.amdhsa_system_sgpr_workgroup_id_z 0
		.amdhsa_system_sgpr_workgroup_info 0
		.amdhsa_system_vgpr_workitem_id 0
		.amdhsa_next_free_vgpr 45
		.amdhsa_next_free_sgpr 13
		.amdhsa_named_barrier_count 0
		.amdhsa_reserve_vcc 1
		.amdhsa_float_round_mode_32 0
		.amdhsa_float_round_mode_16_64 0
		.amdhsa_float_denorm_mode_32 3
		.amdhsa_float_denorm_mode_16_64 3
		.amdhsa_fp16_overflow 0
		.amdhsa_memory_ordered 1
		.amdhsa_forward_progress 1
		.amdhsa_inst_pref_size 57
		.amdhsa_round_robin_scheduling 0
		.amdhsa_exception_fp_ieee_invalid_op 0
		.amdhsa_exception_fp_denorm_src 0
		.amdhsa_exception_fp_ieee_div_zero 0
		.amdhsa_exception_fp_ieee_overflow 0
		.amdhsa_exception_fp_ieee_underflow 0
		.amdhsa_exception_fp_ieee_inexact 0
		.amdhsa_exception_int_div_zero 0
	.end_amdhsa_kernel
	.section	.text._ZN9rocsparseL51gtsv_nopivot_strided_batch_crpcr_pow2_shared_kernelILj256ELj64E21rocsparse_complex_numIfEEEviiiPKT1_S5_S5_PS3_,"axG",@progbits,_ZN9rocsparseL51gtsv_nopivot_strided_batch_crpcr_pow2_shared_kernelILj256ELj64E21rocsparse_complex_numIfEEEviiiPKT1_S5_S5_PS3_,comdat
.Lfunc_end50:
	.size	_ZN9rocsparseL51gtsv_nopivot_strided_batch_crpcr_pow2_shared_kernelILj256ELj64E21rocsparse_complex_numIfEEEviiiPKT1_S5_S5_PS3_, .Lfunc_end50-_ZN9rocsparseL51gtsv_nopivot_strided_batch_crpcr_pow2_shared_kernelILj256ELj64E21rocsparse_complex_numIfEEEviiiPKT1_S5_S5_PS3_
                                        ; -- End function
	.set _ZN9rocsparseL51gtsv_nopivot_strided_batch_crpcr_pow2_shared_kernelILj256ELj64E21rocsparse_complex_numIfEEEviiiPKT1_S5_S5_PS3_.num_vgpr, 45
	.set _ZN9rocsparseL51gtsv_nopivot_strided_batch_crpcr_pow2_shared_kernelILj256ELj64E21rocsparse_complex_numIfEEEviiiPKT1_S5_S5_PS3_.num_agpr, 0
	.set _ZN9rocsparseL51gtsv_nopivot_strided_batch_crpcr_pow2_shared_kernelILj256ELj64E21rocsparse_complex_numIfEEEviiiPKT1_S5_S5_PS3_.numbered_sgpr, 13
	.set _ZN9rocsparseL51gtsv_nopivot_strided_batch_crpcr_pow2_shared_kernelILj256ELj64E21rocsparse_complex_numIfEEEviiiPKT1_S5_S5_PS3_.num_named_barrier, 0
	.set _ZN9rocsparseL51gtsv_nopivot_strided_batch_crpcr_pow2_shared_kernelILj256ELj64E21rocsparse_complex_numIfEEEviiiPKT1_S5_S5_PS3_.private_seg_size, 0
	.set _ZN9rocsparseL51gtsv_nopivot_strided_batch_crpcr_pow2_shared_kernelILj256ELj64E21rocsparse_complex_numIfEEEviiiPKT1_S5_S5_PS3_.uses_vcc, 1
	.set _ZN9rocsparseL51gtsv_nopivot_strided_batch_crpcr_pow2_shared_kernelILj256ELj64E21rocsparse_complex_numIfEEEviiiPKT1_S5_S5_PS3_.uses_flat_scratch, 0
	.set _ZN9rocsparseL51gtsv_nopivot_strided_batch_crpcr_pow2_shared_kernelILj256ELj64E21rocsparse_complex_numIfEEEviiiPKT1_S5_S5_PS3_.has_dyn_sized_stack, 0
	.set _ZN9rocsparseL51gtsv_nopivot_strided_batch_crpcr_pow2_shared_kernelILj256ELj64E21rocsparse_complex_numIfEEEviiiPKT1_S5_S5_PS3_.has_recursion, 0
	.set _ZN9rocsparseL51gtsv_nopivot_strided_batch_crpcr_pow2_shared_kernelILj256ELj64E21rocsparse_complex_numIfEEEviiiPKT1_S5_S5_PS3_.has_indirect_call, 0
	.section	.AMDGPU.csdata,"",@progbits
; Kernel info:
; codeLenInByte = 7272
; TotalNumSgprs: 15
; NumVgprs: 45
; ScratchSize: 0
; MemoryBound: 0
; FloatMode: 240
; IeeeMode: 1
; LDSByteSize: 23040 bytes/workgroup (compile time only)
; SGPRBlocks: 0
; VGPRBlocks: 2
; NumSGPRsForWavesPerEU: 15
; NumVGPRsForWavesPerEU: 45
; NamedBarCnt: 0
; Occupancy: 16
; WaveLimiterHint : 0
; COMPUTE_PGM_RSRC2:SCRATCH_EN: 0
; COMPUTE_PGM_RSRC2:USER_SGPR: 2
; COMPUTE_PGM_RSRC2:TRAP_HANDLER: 0
; COMPUTE_PGM_RSRC2:TGID_X_EN: 1
; COMPUTE_PGM_RSRC2:TGID_Y_EN: 0
; COMPUTE_PGM_RSRC2:TGID_Z_EN: 0
; COMPUTE_PGM_RSRC2:TIDIG_COMP_CNT: 0
	.section	.text._ZN9rocsparseL44gtsv_nopivot_strided_batch_pcr_shared_kernelILj4E21rocsparse_complex_numIfEEEviiiPKT0_S5_S5_PS3_,"axG",@progbits,_ZN9rocsparseL44gtsv_nopivot_strided_batch_pcr_shared_kernelILj4E21rocsparse_complex_numIfEEEviiiPKT0_S5_S5_PS3_,comdat
	.globl	_ZN9rocsparseL44gtsv_nopivot_strided_batch_pcr_shared_kernelILj4E21rocsparse_complex_numIfEEEviiiPKT0_S5_S5_PS3_ ; -- Begin function _ZN9rocsparseL44gtsv_nopivot_strided_batch_pcr_shared_kernelILj4E21rocsparse_complex_numIfEEEviiiPKT0_S5_S5_PS3_
	.p2align	8
	.type	_ZN9rocsparseL44gtsv_nopivot_strided_batch_pcr_shared_kernelILj4E21rocsparse_complex_numIfEEEviiiPKT0_S5_S5_PS3_,@function
_ZN9rocsparseL44gtsv_nopivot_strided_batch_pcr_shared_kernelILj4E21rocsparse_complex_numIfEEEviiiPKT0_S5_S5_PS3_: ; @_ZN9rocsparseL44gtsv_nopivot_strided_batch_pcr_shared_kernelILj4E21rocsparse_complex_numIfEEEviiiPKT0_S5_S5_PS3_
; %bb.0:
	s_clause 0x1
	s_load_b32 s2, s[0:1], 0x8
	s_load_b32 s3, s[0:1], 0x0
	s_bfe_u32 s4, ttmp6, 0x4000c
	s_and_b32 s5, ttmp6, 15
	s_add_co_i32 s4, s4, 1
	s_getreg_b32 s6, hwreg(HW_REG_IB_STS2, 6, 4)
	s_mul_i32 s4, ttmp9, s4
	v_dual_mov_b32 v2, 0 :: v_dual_mov_b32 v6, 0
	s_add_co_i32 s5, s5, s4
	s_cmp_eq_u32 s6, 0
	v_mov_b32_e32 v7, 0
	s_cselect_b32 s4, ttmp9, s5
	s_wait_kmcnt 0x0
	v_mad_u32 v1, s2, s4, v0
	v_cmp_gt_i32_e64 s2, s3, v0
	s_and_saveexec_b32 s4, s2
	s_cbranch_execz .LBB51_2
; %bb.1:
	s_load_b64 s[6:7], s[0:1], 0x10
	s_wait_kmcnt 0x0
	global_load_b64 v[6:7], v1, s[6:7] scale_offset
.LBB51_2:
	s_wait_xcnt 0x0
	s_or_b32 exec_lo, exec_lo, s4
	v_dual_lshlrev_b32 v8, 3, v0 :: v_dual_mov_b32 v4, 0
	v_mov_b32_e32 v5, 0
	s_wait_loadcnt 0x0
	ds_store_b64 v8, v[6:7]
	s_and_saveexec_b32 s4, s2
	s_cbranch_execz .LBB51_4
; %bb.3:
	s_load_b64 s[6:7], s[0:1], 0x18
	s_wait_kmcnt 0x0
	global_load_b64 v[4:5], v1, s[6:7] scale_offset
.LBB51_4:
	s_wait_xcnt 0x0
	s_or_b32 exec_lo, exec_lo, s4
	s_load_b64 s[4:5], s[0:1], 0x28
	v_mov_b32_e32 v3, 0
	s_wait_loadcnt 0x0
	ds_store_b64 v8, v[4:5] offset:32
	s_and_saveexec_b32 s6, s2
	s_cbranch_execz .LBB51_6
; %bb.5:
	s_wait_xcnt 0x0
	s_load_b64 s[0:1], s[0:1], 0x20
	s_wait_kmcnt 0x0
	global_load_b64 v[2:3], v1, s[0:1] scale_offset
.LBB51_6:
	s_wait_xcnt 0x0
	s_or_b32 exec_lo, exec_lo, s6
	v_dual_mov_b32 v4, 0 :: v_dual_bitop2_b32 v6, 32, v8 bitop3:0x54
	v_dual_mov_b32 v5, 0 :: v_dual_bitop2_b32 v7, 64, v8 bitop3:0x54
	s_wait_loadcnt 0x0
	ds_store_b64 v8, v[2:3] offset:64
	s_and_saveexec_b32 s0, s2
	s_cbranch_execz .LBB51_8
; %bb.7:
	s_wait_kmcnt 0x0
	global_load_b64 v[4:5], v1, s[4:5] scale_offset
.LBB51_8:
	s_wait_xcnt 0x0
	s_or_b32 exec_lo, exec_lo, s0
	s_add_co_i32 s0, s3, -1
	v_sub_nc_u32_e64 v2, v0, 1 clamp
	v_add_min_i32_e64 v3, v0, 1, s0
	s_wait_loadcnt 0x0
	ds_store_b64 v8, v[4:5] offset:128
	s_wait_dscnt 0x0
	; wave barrier
	v_dual_lshlrev_b32 v9, 3, v2 :: v_dual_lshlrev_b32 v18, 3, v3
	ds_load_2addr_b64 v[2:5], v9 offset1:4
	ds_load_2addr_b64 v[10:13], v18 offset1:4
	ds_load_b64 v[22:23], v8
	ds_load_b64 v[24:25], v7
	s_wait_dscnt 0x2
	v_mul_f32_e32 v31, v13, v13
	s_delay_alu instid0(VALU_DEP_1) | instskip(NEXT) | instid1(VALU_DEP_1)
	v_dual_mul_f32 v30, v5, v5 :: v_dual_fmac_f32 v31, v12, v12
	v_fmac_f32_e32 v30, v4, v4
	s_delay_alu instid0(VALU_DEP_2) | instskip(NEXT) | instid1(VALU_DEP_2)
	v_div_scale_f32 v33, null, v31, v31, 1.0
	v_div_scale_f32 v32, null, v30, v30, 1.0
	v_div_scale_f32 v36, vcc_lo, 1.0, v30, 1.0
	s_delay_alu instid0(VALU_DEP_3) | instskip(NEXT) | instid1(VALU_DEP_2)
	v_rcp_f32_e32 v35, v33
	v_rcp_f32_e32 v34, v32
	v_div_scale_f32 v37, s0, 1.0, v31, 1.0
	s_delay_alu instid0(TRANS32_DEP_2) | instskip(NEXT) | instid1(TRANS32_DEP_1)
	v_fma_f32 v15, -v33, v35, 1.0
	v_fma_f32 v14, -v32, v34, 1.0
	s_delay_alu instid0(VALU_DEP_1)
	v_dual_fmac_f32 v35, v15, v35 :: v_dual_fmac_f32 v34, v14, v34
	ds_load_b64 v[26:27], v6
	ds_load_b64 v[28:29], v8 offset:128
	ds_load_2addr_b64 v[14:17], v9 offset0:8 offset1:16
	s_wait_dscnt 0x4
	v_dual_mul_f32 v9, v5, v23 :: v_dual_mul_f32 v5, v5, -v22
	v_dual_mul_f32 v39, v37, v35 :: v_dual_mul_f32 v38, v36, v34
	s_delay_alu instid0(VALU_DEP_2) | instskip(NEXT) | instid1(VALU_DEP_2)
	v_fmac_f32_e32 v5, v23, v4
	v_dual_fma_f32 v40, -v33, v39, v37 :: v_dual_fma_f32 v19, -v32, v38, v36
	s_delay_alu instid0(VALU_DEP_1) | instskip(SKIP_4) | instid1(VALU_DEP_2)
	v_dual_fmac_f32 v39, v40, v35 :: v_dual_fmac_f32 v38, v19, v34
	ds_load_2addr_b64 v[18:21], v18 offset0:8 offset1:16
	s_wait_dscnt 0x0
	; wave barrier
	v_dual_fma_f32 v32, -v32, v38, v36 :: v_dual_mul_f32 v36, v13, -v24
	v_mul_f32_e32 v13, v13, v25
	v_div_fmas_f32 v32, v32, v34, v38
	s_delay_alu instid0(VALU_DEP_2) | instskip(SKIP_2) | instid1(VALU_DEP_3)
	v_dual_fmac_f32 v36, v25, v12 :: v_dual_fmac_f32 v13, v24, v12
	v_fma_f32 v33, -v33, v39, v37
	s_mov_b32 vcc_lo, s0
	v_div_fixup_f32 v23, v32, v30, 1.0
	v_fmac_f32_e32 v9, v22, v4
	s_delay_alu instid0(VALU_DEP_3) | instskip(SKIP_1) | instid1(VALU_DEP_3)
	v_div_fmas_f32 v33, v33, v35, v39
	v_cmp_gt_u32_e32 vcc_lo, 2, v0
	v_dual_mul_f32 v4, v5, v23 :: v_dual_mul_f32 v22, v23, v9
	s_delay_alu instid0(VALU_DEP_3) | instskip(NEXT) | instid1(VALU_DEP_2)
	v_div_fixup_f32 v32, v33, v31, 1.0
	v_pk_mul_f32 v[24:25], v[4:5], v[14:15] op_sel:[0,1] op_sel_hi:[0,0] neg_lo:[0,1]
	v_pk_mul_f32 v[30:31], v[4:5], v[16:17] op_sel:[0,1] op_sel_hi:[0,0] neg_lo:[0,1]
	v_pk_mul_f32 v[4:5], v[4:5], v[2:3] op_sel:[0,1] op_sel_hi:[0,0] neg_hi:[0,1]
	s_delay_alu instid0(VALU_DEP_4)
	v_mul_f32_e32 v12, v36, v32
	v_mul_f32_e32 v32, v32, v13
	v_pk_fma_f32 v[14:15], v[14:15], v[22:23], v[24:25] op_sel_hi:[1,0,1]
	v_pk_fma_f32 v[16:17], v[16:17], v[22:23], v[30:31] op_sel_hi:[1,0,1]
	v_pk_fma_f32 v[2:3], v[2:3], v[22:23], v[4:5] op_sel_hi:[1,0,1] neg_lo:[1,0,0] neg_hi:[1,0,0]
	v_pk_mul_f32 v[34:35], v[12:13], v[10:11] op_sel:[0,1] op_sel_hi:[0,0] neg_lo:[0,1]
	v_pk_mul_f32 v[36:37], v[12:13], v[20:21] op_sel:[0,1] op_sel_hi:[0,0] neg_lo:[0,1]
	v_pk_add_f32 v[14:15], v[26:27], v[14:15] neg_lo:[0,1] neg_hi:[0,1]
	v_pk_add_f32 v[16:17], v[28:29], v[16:17] neg_lo:[0,1] neg_hi:[0,1]
	v_pk_mul_f32 v[12:13], v[12:13], v[18:19] op_sel:[0,1] op_sel_hi:[0,0] neg_hi:[0,1]
	v_pk_fma_f32 v[10:11], v[10:11], v[32:33], v[34:35] op_sel_hi:[1,0,1]
	v_pk_fma_f32 v[20:21], v[20:21], v[32:33], v[36:37] op_sel_hi:[1,0,1]
	s_delay_alu instid0(VALU_DEP_3) | instskip(NEXT) | instid1(VALU_DEP_3)
	v_pk_fma_f32 v[4:5], v[18:19], v[32:33], v[12:13] op_sel_hi:[1,0,1] neg_lo:[1,0,0] neg_hi:[1,0,0]
	v_pk_add_f32 v[10:11], v[14:15], v[10:11] neg_lo:[0,1] neg_hi:[0,1]
	s_delay_alu instid0(VALU_DEP_3)
	v_pk_add_f32 v[14:15], v[16:17], v[20:21] neg_lo:[0,1] neg_hi:[0,1]
	ds_store_b64 v6, v[10:11]
	ds_store_b64 v8, v[14:15] offset:128
	ds_store_b64 v8, v[2:3]
	ds_store_b64 v7, v[4:5]
	s_wait_dscnt 0x0
	; wave barrier
	s_and_saveexec_b32 s0, vcc_lo
	s_cbranch_execz .LBB51_14
; %bb.9:
	v_or_b32_e32 v4, 2, v0
	v_or_b32_e32 v5, 0x80, v8
	s_mov_b32 s1, exec_lo
                                        ; implicit-def: $vgpr2_vgpr3
	s_delay_alu instid0(VALU_DEP_2)
	v_cmpx_le_i32_e64 s3, v4
	s_xor_b32 s1, exec_lo, s1
	s_cbranch_execz .LBB51_11
; %bb.10:
	ds_load_b64 v[2:3], v6
	s_wait_dscnt 0x0
	v_mul_f32_e32 v9, v3, v3
	s_delay_alu instid0(VALU_DEP_1) | instskip(NEXT) | instid1(VALU_DEP_1)
	v_fmac_f32_e32 v9, v2, v2
	v_div_scale_f32 v6, null, v9, v9, 1.0
	s_delay_alu instid0(VALU_DEP_1) | instskip(SKIP_1) | instid1(TRANS32_DEP_1)
	v_rcp_f32_e32 v7, v6
	v_nop
	v_fma_f32 v4, -v6, v7, 1.0
	s_delay_alu instid0(VALU_DEP_1) | instskip(SKIP_3) | instid1(VALU_DEP_1)
	v_fmac_f32_e32 v7, v4, v7
	v_div_scale_f32 v10, vcc_lo, 1.0, v9, 1.0
	ds_load_b64 v[4:5], v5
	v_mul_f32_e32 v11, v10, v7
	v_fma_f32 v12, -v6, v11, v10
	s_delay_alu instid0(VALU_DEP_1) | instskip(NEXT) | instid1(VALU_DEP_1)
	v_fmac_f32_e32 v11, v12, v7
	v_fma_f32 v6, -v6, v11, v10
	s_delay_alu instid0(VALU_DEP_1) | instskip(SKIP_2) | instid1(VALU_DEP_2)
	v_div_fmas_f32 v10, v6, v7, v11
	s_wait_dscnt 0x0
	v_pk_mul_f32 v[6:7], v[2:3], v[4:5] op_sel:[1,1] op_sel_hi:[1,0] neg_hi:[0,1]
	v_div_fixup_f32 v10, v10, v9, 1.0
	s_delay_alu instid0(VALU_DEP_2) | instskip(NEXT) | instid1(VALU_DEP_1)
	v_pk_fma_f32 v[2:3], v[4:5], v[2:3], v[6:7] op_sel_hi:[1,0,1]
                                        ; implicit-def: $vgpr6
                                        ; implicit-def: $vgpr7
                                        ; implicit-def: $vgpr5
                                        ; implicit-def: $vgpr4
	v_pk_mul_f32 v[2:3], v[10:11], v[2:3] op_sel_hi:[0,1]
.LBB51_11:
	s_and_not1_saveexec_b32 s1, s1
	s_cbranch_execz .LBB51_13
; %bb.12:
	ds_load_2addr_b64 v[10:13], v6 offset1:2
	ds_load_b64 v[2:3], v7
	ds_load_b32 v0, v5
	ds_load_b64 v[6:7], v5
	ds_load_b64 v[14:15], v8 offset:16
	s_wait_dscnt 0x4
	v_pk_mul_f32 v[16:17], v[10:11], v[12:13] op_sel:[1,1] op_sel_hi:[1,0] neg_lo:[0,1]
	s_wait_dscnt 0x0
	v_pk_mul_f32 v[18:19], v[14:15], v[2:3] op_sel:[1,1] op_sel_hi:[1,0] neg_lo:[0,1]
	s_delay_alu instid0(VALU_DEP_2) | instskip(SKIP_1) | instid1(VALU_DEP_3)
	v_pk_fma_f32 v[16:17], v[12:13], v[10:11], v[16:17] op_sel_hi:[1,0,1]
	v_pk_mul_f32 v[28:29], v[14:15], v[6:7] op_sel:[1,1] op_sel_hi:[1,0] neg_lo:[0,1]
	v_pk_fma_f32 v[18:19], v[2:3], v[14:15], v[18:19] op_sel_hi:[1,0,1]
	s_delay_alu instid0(VALU_DEP_2) | instskip(NEXT) | instid1(VALU_DEP_2)
	v_pk_fma_f32 v[6:7], v[6:7], v[14:15], v[28:29] op_sel_hi:[1,0,1]
	v_pk_add_f32 v[16:17], v[16:17], v[18:19] neg_lo:[0,1] neg_hi:[0,1]
	ds_load_2addr_b32 v[18:19], v5 offset0:1 offset1:4
	ds_load_b32 v20, v5 offset:20
	ds_load_b64 v[22:23], v5 offset:16
	v_mul_f32_e32 v9, v17, v17
	s_delay_alu instid0(VALU_DEP_1) | instskip(NEXT) | instid1(VALU_DEP_1)
	v_fmac_f32_e32 v9, v16, v16
	v_div_scale_f32 v26, null, v9, v9, 1.0
	s_wait_dscnt 0x2
	v_pk_mul_f32 v[24:25], v[18:19], v[12:13] op_sel:[0,1] op_sel_hi:[0,0] neg_lo:[0,1]
	s_delay_alu instid0(VALU_DEP_2) | instskip(SKIP_1) | instid1(VALU_DEP_2)
	v_rcp_f32_e32 v30, v26
	v_mov_b32_e32 v18, v19
	v_pk_fma_f32 v[12:13], v[12:13], v[0:1], v[24:25] op_sel_hi:[1,0,1]
	v_fma_f32 v0, v16, 0, -v17
	s_delay_alu instid0(TRANS32_DEP_1) | instskip(NEXT) | instid1(VALU_DEP_1)
	v_fma_f32 v21, -v26, v30, 1.0
	v_fmac_f32_e32 v30, v21, v30
	v_div_scale_f32 v27, vcc_lo, 1.0, v9, 1.0
	s_delay_alu instid0(VALU_DEP_1) | instskip(NEXT) | instid1(VALU_DEP_1)
	v_mul_f32_e32 v5, v27, v30
	v_fma_f32 v21, -v26, v5, v27
	s_delay_alu instid0(VALU_DEP_1) | instskip(SKIP_2) | instid1(VALU_DEP_2)
	v_fmac_f32_e32 v5, v21, v30
	s_wait_dscnt 0x1
	v_pk_mul_f32 v[20:21], v[20:21], v[2:3] op_sel:[0,1] op_sel_hi:[0,0] neg_lo:[0,1]
	v_fma_f32 v19, -v26, v5, v27
	s_wait_dscnt 0x0
	v_pk_mul_f32 v[26:27], v[10:11], v[22:23] op_sel:[1,1] op_sel_hi:[1,0] neg_lo:[0,1]
	s_delay_alu instid0(VALU_DEP_2) | instskip(NEXT) | instid1(VALU_DEP_2)
	v_div_fmas_f32 v5, v19, v30, v5
	v_pk_fma_f32 v[10:11], v[22:23], v[10:11], v[26:27] op_sel_hi:[1,0,1]
	s_delay_alu instid0(VALU_DEP_2) | instskip(SKIP_1) | instid1(VALU_DEP_3)
	v_div_fixup_f32 v5, v5, v9, 1.0
	v_fma_f32 v9, 0, v17, v16
	v_pk_add_f32 v[6:7], v[10:11], v[6:7] neg_lo:[0,1] neg_hi:[0,1]
	s_delay_alu instid0(VALU_DEP_3) | instskip(SKIP_1) | instid1(VALU_DEP_4)
	v_mul_f32_e32 v0, v0, v5
	v_pk_fma_f32 v[2:3], v[2:3], v[18:19], v[20:21] op_sel_hi:[1,0,1]
	v_mul_f32_e32 v10, v9, v5
	s_delay_alu instid0(VALU_DEP_3) | instskip(NEXT) | instid1(VALU_DEP_3)
	v_pk_mul_f32 v[14:15], v[0:1], v[6:7] op_sel:[0,1] op_sel_hi:[0,0] neg_lo:[0,1]
	v_pk_add_f32 v[2:3], v[12:13], v[2:3] neg_lo:[0,1] neg_hi:[0,1]
	s_delay_alu instid0(VALU_DEP_1) | instskip(SKIP_1) | instid1(VALU_DEP_2)
	v_pk_mul_f32 v[12:13], v[0:1], v[2:3] op_sel:[0,1] op_sel_hi:[0,0] neg_lo:[0,1]
	v_mov_b32_e32 v0, v4
	v_pk_fma_f32 v[12:13], v[2:3], v[10:11], v[12:13] op_sel_hi:[1,0,1]
	v_pk_fma_f32 v[2:3], v[6:7], v[10:11], v[14:15] op_sel_hi:[1,0,1]
	ds_store_b64 v8, v[12:13] offset:96
.LBB51_13:
	s_or_b32 exec_lo, exec_lo, s1
	v_lshlrev_b32_e32 v0, 3, v0
	ds_store_b64 v0, v[2:3] offset:96
.LBB51_14:
	s_or_b32 exec_lo, exec_lo, s0
	s_wait_dscnt 0x0
	; wave barrier
	s_and_saveexec_b32 s0, s2
	s_cbranch_execz .LBB51_16
; %bb.15:
	ds_load_b64 v[2:3], v8 offset:96
	s_wait_dscnt 0x0
	s_wait_kmcnt 0x0
	global_store_b64 v1, v[2:3], s[4:5] scale_offset
.LBB51_16:
	s_endpgm
	.section	.rodata,"a",@progbits
	.p2align	6, 0x0
	.amdhsa_kernel _ZN9rocsparseL44gtsv_nopivot_strided_batch_pcr_shared_kernelILj4E21rocsparse_complex_numIfEEEviiiPKT0_S5_S5_PS3_
		.amdhsa_group_segment_fixed_size 160
		.amdhsa_private_segment_fixed_size 0
		.amdhsa_kernarg_size 48
		.amdhsa_user_sgpr_count 2
		.amdhsa_user_sgpr_dispatch_ptr 0
		.amdhsa_user_sgpr_queue_ptr 0
		.amdhsa_user_sgpr_kernarg_segment_ptr 1
		.amdhsa_user_sgpr_dispatch_id 0
		.amdhsa_user_sgpr_kernarg_preload_length 0
		.amdhsa_user_sgpr_kernarg_preload_offset 0
		.amdhsa_user_sgpr_private_segment_size 0
		.amdhsa_wavefront_size32 1
		.amdhsa_uses_dynamic_stack 0
		.amdhsa_enable_private_segment 0
		.amdhsa_system_sgpr_workgroup_id_x 1
		.amdhsa_system_sgpr_workgroup_id_y 0
		.amdhsa_system_sgpr_workgroup_id_z 0
		.amdhsa_system_sgpr_workgroup_info 0
		.amdhsa_system_vgpr_workitem_id 0
		.amdhsa_next_free_vgpr 41
		.amdhsa_next_free_sgpr 8
		.amdhsa_named_barrier_count 0
		.amdhsa_reserve_vcc 1
		.amdhsa_float_round_mode_32 0
		.amdhsa_float_round_mode_16_64 0
		.amdhsa_float_denorm_mode_32 3
		.amdhsa_float_denorm_mode_16_64 3
		.amdhsa_fp16_overflow 0
		.amdhsa_memory_ordered 1
		.amdhsa_forward_progress 1
		.amdhsa_inst_pref_size 13
		.amdhsa_round_robin_scheduling 0
		.amdhsa_exception_fp_ieee_invalid_op 0
		.amdhsa_exception_fp_denorm_src 0
		.amdhsa_exception_fp_ieee_div_zero 0
		.amdhsa_exception_fp_ieee_overflow 0
		.amdhsa_exception_fp_ieee_underflow 0
		.amdhsa_exception_fp_ieee_inexact 0
		.amdhsa_exception_int_div_zero 0
	.end_amdhsa_kernel
	.section	.text._ZN9rocsparseL44gtsv_nopivot_strided_batch_pcr_shared_kernelILj4E21rocsparse_complex_numIfEEEviiiPKT0_S5_S5_PS3_,"axG",@progbits,_ZN9rocsparseL44gtsv_nopivot_strided_batch_pcr_shared_kernelILj4E21rocsparse_complex_numIfEEEviiiPKT0_S5_S5_PS3_,comdat
.Lfunc_end51:
	.size	_ZN9rocsparseL44gtsv_nopivot_strided_batch_pcr_shared_kernelILj4E21rocsparse_complex_numIfEEEviiiPKT0_S5_S5_PS3_, .Lfunc_end51-_ZN9rocsparseL44gtsv_nopivot_strided_batch_pcr_shared_kernelILj4E21rocsparse_complex_numIfEEEviiiPKT0_S5_S5_PS3_
                                        ; -- End function
	.set _ZN9rocsparseL44gtsv_nopivot_strided_batch_pcr_shared_kernelILj4E21rocsparse_complex_numIfEEEviiiPKT0_S5_S5_PS3_.num_vgpr, 41
	.set _ZN9rocsparseL44gtsv_nopivot_strided_batch_pcr_shared_kernelILj4E21rocsparse_complex_numIfEEEviiiPKT0_S5_S5_PS3_.num_agpr, 0
	.set _ZN9rocsparseL44gtsv_nopivot_strided_batch_pcr_shared_kernelILj4E21rocsparse_complex_numIfEEEviiiPKT0_S5_S5_PS3_.numbered_sgpr, 8
	.set _ZN9rocsparseL44gtsv_nopivot_strided_batch_pcr_shared_kernelILj4E21rocsparse_complex_numIfEEEviiiPKT0_S5_S5_PS3_.num_named_barrier, 0
	.set _ZN9rocsparseL44gtsv_nopivot_strided_batch_pcr_shared_kernelILj4E21rocsparse_complex_numIfEEEviiiPKT0_S5_S5_PS3_.private_seg_size, 0
	.set _ZN9rocsparseL44gtsv_nopivot_strided_batch_pcr_shared_kernelILj4E21rocsparse_complex_numIfEEEviiiPKT0_S5_S5_PS3_.uses_vcc, 1
	.set _ZN9rocsparseL44gtsv_nopivot_strided_batch_pcr_shared_kernelILj4E21rocsparse_complex_numIfEEEviiiPKT0_S5_S5_PS3_.uses_flat_scratch, 0
	.set _ZN9rocsparseL44gtsv_nopivot_strided_batch_pcr_shared_kernelILj4E21rocsparse_complex_numIfEEEviiiPKT0_S5_S5_PS3_.has_dyn_sized_stack, 0
	.set _ZN9rocsparseL44gtsv_nopivot_strided_batch_pcr_shared_kernelILj4E21rocsparse_complex_numIfEEEviiiPKT0_S5_S5_PS3_.has_recursion, 0
	.set _ZN9rocsparseL44gtsv_nopivot_strided_batch_pcr_shared_kernelILj4E21rocsparse_complex_numIfEEEviiiPKT0_S5_S5_PS3_.has_indirect_call, 0
	.section	.AMDGPU.csdata,"",@progbits
; Kernel info:
; codeLenInByte = 1572
; TotalNumSgprs: 10
; NumVgprs: 41
; ScratchSize: 0
; MemoryBound: 0
; FloatMode: 240
; IeeeMode: 1
; LDSByteSize: 160 bytes/workgroup (compile time only)
; SGPRBlocks: 0
; VGPRBlocks: 2
; NumSGPRsForWavesPerEU: 10
; NumVGPRsForWavesPerEU: 41
; NamedBarCnt: 0
; Occupancy: 16
; WaveLimiterHint : 0
; COMPUTE_PGM_RSRC2:SCRATCH_EN: 0
; COMPUTE_PGM_RSRC2:USER_SGPR: 2
; COMPUTE_PGM_RSRC2:TRAP_HANDLER: 0
; COMPUTE_PGM_RSRC2:TGID_X_EN: 1
; COMPUTE_PGM_RSRC2:TGID_Y_EN: 0
; COMPUTE_PGM_RSRC2:TGID_Z_EN: 0
; COMPUTE_PGM_RSRC2:TIDIG_COMP_CNT: 0
	.section	.text._ZN9rocsparseL44gtsv_nopivot_strided_batch_pcr_shared_kernelILj8E21rocsparse_complex_numIfEEEviiiPKT0_S5_S5_PS3_,"axG",@progbits,_ZN9rocsparseL44gtsv_nopivot_strided_batch_pcr_shared_kernelILj8E21rocsparse_complex_numIfEEEviiiPKT0_S5_S5_PS3_,comdat
	.globl	_ZN9rocsparseL44gtsv_nopivot_strided_batch_pcr_shared_kernelILj8E21rocsparse_complex_numIfEEEviiiPKT0_S5_S5_PS3_ ; -- Begin function _ZN9rocsparseL44gtsv_nopivot_strided_batch_pcr_shared_kernelILj8E21rocsparse_complex_numIfEEEviiiPKT0_S5_S5_PS3_
	.p2align	8
	.type	_ZN9rocsparseL44gtsv_nopivot_strided_batch_pcr_shared_kernelILj8E21rocsparse_complex_numIfEEEviiiPKT0_S5_S5_PS3_,@function
_ZN9rocsparseL44gtsv_nopivot_strided_batch_pcr_shared_kernelILj8E21rocsparse_complex_numIfEEEviiiPKT0_S5_S5_PS3_: ; @_ZN9rocsparseL44gtsv_nopivot_strided_batch_pcr_shared_kernelILj8E21rocsparse_complex_numIfEEEviiiPKT0_S5_S5_PS3_
; %bb.0:
	s_clause 0x1
	s_load_b32 s2, s[0:1], 0x8
	s_load_b32 s3, s[0:1], 0x0
	s_bfe_u32 s4, ttmp6, 0x4000c
	s_and_b32 s5, ttmp6, 15
	s_add_co_i32 s4, s4, 1
	s_getreg_b32 s6, hwreg(HW_REG_IB_STS2, 6, 4)
	s_mul_i32 s4, ttmp9, s4
	v_dual_mov_b32 v2, 0 :: v_dual_mov_b32 v6, 0
	s_add_co_i32 s5, s5, s4
	s_cmp_eq_u32 s6, 0
	v_mov_b32_e32 v7, 0
	s_cselect_b32 s4, ttmp9, s5
	s_wait_kmcnt 0x0
	v_mad_u32 v1, s2, s4, v0
	v_cmp_gt_i32_e64 s2, s3, v0
	s_and_saveexec_b32 s4, s2
	s_cbranch_execz .LBB52_2
; %bb.1:
	s_load_b64 s[6:7], s[0:1], 0x10
	s_wait_kmcnt 0x0
	global_load_b64 v[6:7], v1, s[6:7] scale_offset
.LBB52_2:
	s_wait_xcnt 0x0
	s_or_b32 exec_lo, exec_lo, s4
	v_dual_lshlrev_b32 v8, 3, v0 :: v_dual_mov_b32 v4, 0
	v_mov_b32_e32 v5, 0
	s_wait_loadcnt 0x0
	ds_store_b64 v8, v[6:7]
	s_and_saveexec_b32 s4, s2
	s_cbranch_execz .LBB52_4
; %bb.3:
	s_load_b64 s[6:7], s[0:1], 0x18
	s_wait_kmcnt 0x0
	global_load_b64 v[4:5], v1, s[6:7] scale_offset
.LBB52_4:
	s_wait_xcnt 0x0
	s_or_b32 exec_lo, exec_lo, s4
	s_load_b64 s[4:5], s[0:1], 0x28
	v_mov_b32_e32 v3, 0
	s_wait_loadcnt 0x0
	ds_store_b64 v8, v[4:5] offset:64
	s_and_saveexec_b32 s6, s2
	s_cbranch_execz .LBB52_6
; %bb.5:
	s_wait_xcnt 0x0
	s_load_b64 s[0:1], s[0:1], 0x20
	s_wait_kmcnt 0x0
	global_load_b64 v[2:3], v1, s[0:1] scale_offset
.LBB52_6:
	s_wait_xcnt 0x0
	s_or_b32 exec_lo, exec_lo, s6
	v_dual_mov_b32 v4, 0 :: v_dual_bitop2_b32 v6, 64, v8 bitop3:0x54
	v_or_b32_e32 v7, 0x80, v8
	v_mov_b32_e32 v5, 0
	s_wait_loadcnt 0x0
	ds_store_b64 v8, v[2:3] offset:128
	s_and_saveexec_b32 s0, s2
	s_cbranch_execz .LBB52_8
; %bb.7:
	s_wait_kmcnt 0x0
	global_load_b64 v[4:5], v1, s[4:5] scale_offset
.LBB52_8:
	s_wait_xcnt 0x0
	s_or_b32 exec_lo, exec_lo, s0
	s_add_co_i32 s1, s3, -1
	v_sub_nc_u32_e64 v2, v0, 1 clamp
	v_add_min_i32_e64 v3, v0, 1, s1
	s_wait_loadcnt 0x0
	ds_store_b64 v8, v[4:5] offset:256
	s_wait_dscnt 0x0
	; wave barrier
	v_dual_lshlrev_b32 v9, 3, v2 :: v_dual_lshlrev_b32 v18, 3, v3
	v_sub_nc_u32_e64 v40, v0, 2 clamp
	v_add_min_i32_e64 v42, v0, 2, s1
	ds_load_2addr_b64 v[2:5], v9 offset1:8
	ds_load_2addr_b64 v[10:13], v18 offset1:8
	ds_load_b64 v[22:23], v8
	ds_load_b64 v[24:25], v7
	;; [unrolled: 1-line block ×3, first 2 shown]
	ds_load_b64 v[28:29], v8 offset:256
	s_wait_dscnt 0x4
	v_mul_f32_e32 v31, v13, v13
	s_delay_alu instid0(VALU_DEP_1) | instskip(NEXT) | instid1(VALU_DEP_1)
	v_dual_mul_f32 v30, v5, v5 :: v_dual_fmac_f32 v31, v12, v12
	v_fmac_f32_e32 v30, v4, v4
	s_delay_alu instid0(VALU_DEP_2) | instskip(NEXT) | instid1(VALU_DEP_2)
	v_div_scale_f32 v33, null, v31, v31, 1.0
	v_div_scale_f32 v32, null, v30, v30, 1.0
	v_div_scale_f32 v36, vcc_lo, 1.0, v30, 1.0
	s_delay_alu instid0(VALU_DEP_3) | instskip(NEXT) | instid1(VALU_DEP_2)
	v_rcp_f32_e32 v35, v33
	v_rcp_f32_e32 v34, v32
	v_div_scale_f32 v37, s0, 1.0, v31, 1.0
	s_delay_alu instid0(TRANS32_DEP_2) | instskip(NEXT) | instid1(TRANS32_DEP_1)
	v_fma_f32 v15, -v33, v35, 1.0
	v_fma_f32 v14, -v32, v34, 1.0
	s_delay_alu instid0(VALU_DEP_1) | instskip(SKIP_4) | instid1(VALU_DEP_2)
	v_dual_fmac_f32 v35, v15, v35 :: v_dual_fmac_f32 v34, v14, v34
	ds_load_2addr_b64 v[14:17], v9 offset0:16 offset1:32
	s_wait_dscnt 0x4
	v_dual_mul_f32 v9, v5, v23 :: v_dual_mul_f32 v5, v5, -v22
	v_dual_mul_f32 v39, v37, v35 :: v_dual_mul_f32 v38, v36, v34
	v_fmac_f32_e32 v5, v23, v4
	s_delay_alu instid0(VALU_DEP_2) | instskip(NEXT) | instid1(VALU_DEP_1)
	v_dual_fma_f32 v41, -v33, v39, v37 :: v_dual_fma_f32 v19, -v32, v38, v36
	v_dual_fmac_f32 v39, v41, v35 :: v_dual_fmac_f32 v38, v19, v34
	ds_load_2addr_b64 v[18:21], v18 offset0:16 offset1:32
	s_wait_dscnt 0x0
	; wave barrier
	v_dual_fma_f32 v32, -v32, v38, v36 :: v_dual_mul_f32 v36, v13, -v24
	v_mul_f32_e32 v13, v13, v25
	s_delay_alu instid0(VALU_DEP_2) | instskip(NEXT) | instid1(VALU_DEP_2)
	v_div_fmas_f32 v32, v32, v34, v38
	v_dual_fmac_f32 v36, v25, v12 :: v_dual_fmac_f32 v13, v24, v12
	v_fma_f32 v33, -v33, v39, v37
	s_mov_b32 vcc_lo, s0
	s_delay_alu instid0(VALU_DEP_3) | instskip(SKIP_1) | instid1(VALU_DEP_3)
	v_div_fixup_f32 v23, v32, v30, 1.0
	v_fmac_f32_e32 v9, v22, v4
	v_div_fmas_f32 v33, v33, v35, v39
	s_delay_alu instid0(VALU_DEP_2) | instskip(SKIP_1) | instid1(VALU_DEP_3)
	v_dual_mul_f32 v4, v5, v23 :: v_dual_mul_f32 v22, v23, v9
	v_lshlrev_b32_e32 v9, 3, v42
	v_div_fixup_f32 v32, v33, v31, 1.0
	v_lshlrev_b32_e32 v33, 3, v40
	s_delay_alu instid0(VALU_DEP_4)
	v_pk_mul_f32 v[24:25], v[4:5], v[14:15] op_sel:[0,1] op_sel_hi:[0,0] neg_lo:[0,1]
	v_pk_mul_f32 v[30:31], v[4:5], v[16:17] op_sel:[0,1] op_sel_hi:[0,0] neg_lo:[0,1]
	v_pk_mul_f32 v[4:5], v[4:5], v[2:3] op_sel:[0,1] op_sel_hi:[0,0] neg_hi:[0,1]
	v_mul_f32_e32 v12, v36, v32
	v_mul_f32_e32 v32, v32, v13
	v_pk_fma_f32 v[14:15], v[14:15], v[22:23], v[24:25] op_sel_hi:[1,0,1]
	v_pk_fma_f32 v[16:17], v[16:17], v[22:23], v[30:31] op_sel_hi:[1,0,1]
	v_pk_fma_f32 v[2:3], v[2:3], v[22:23], v[4:5] op_sel_hi:[1,0,1] neg_lo:[1,0,0] neg_hi:[1,0,0]
	v_pk_mul_f32 v[34:35], v[12:13], v[10:11] op_sel:[0,1] op_sel_hi:[0,0] neg_lo:[0,1]
	v_pk_mul_f32 v[36:37], v[12:13], v[20:21] op_sel:[0,1] op_sel_hi:[0,0] neg_lo:[0,1]
	v_pk_add_f32 v[14:15], v[26:27], v[14:15] neg_lo:[0,1] neg_hi:[0,1]
	v_pk_add_f32 v[16:17], v[28:29], v[16:17] neg_lo:[0,1] neg_hi:[0,1]
	v_pk_mul_f32 v[12:13], v[12:13], v[18:19] op_sel:[0,1] op_sel_hi:[0,0] neg_hi:[0,1]
	v_pk_fma_f32 v[10:11], v[10:11], v[32:33], v[34:35] op_sel_hi:[1,0,1]
	v_pk_fma_f32 v[20:21], v[20:21], v[32:33], v[36:37] op_sel_hi:[1,0,1]
	s_delay_alu instid0(VALU_DEP_3) | instskip(NEXT) | instid1(VALU_DEP_3)
	v_pk_fma_f32 v[4:5], v[18:19], v[32:33], v[12:13] op_sel_hi:[1,0,1] neg_lo:[1,0,0] neg_hi:[1,0,0]
	v_pk_add_f32 v[10:11], v[14:15], v[10:11] neg_lo:[0,1] neg_hi:[0,1]
	s_delay_alu instid0(VALU_DEP_3)
	v_pk_add_f32 v[14:15], v[16:17], v[20:21] neg_lo:[0,1] neg_hi:[0,1]
	ds_store_b64 v6, v[10:11]
	ds_store_b64 v8, v[14:15] offset:256
	ds_store_b64 v8, v[2:3]
	ds_store_b64 v7, v[4:5]
	s_wait_dscnt 0x0
	; wave barrier
	ds_load_2addr_b64 v[2:5], v33 offset1:8
	ds_load_2addr_b64 v[10:13], v9 offset1:8
	ds_load_b64 v[22:23], v8
	ds_load_b64 v[24:25], v7
	s_wait_dscnt 0x2
	v_mul_f32_e32 v31, v13, v13
	s_delay_alu instid0(VALU_DEP_1) | instskip(NEXT) | instid1(VALU_DEP_1)
	v_dual_mul_f32 v30, v5, v5 :: v_dual_fmac_f32 v31, v12, v12
	v_fmac_f32_e32 v30, v4, v4
	s_delay_alu instid0(VALU_DEP_2) | instskip(NEXT) | instid1(VALU_DEP_2)
	v_div_scale_f32 v34, null, v31, v31, 1.0
	v_div_scale_f32 v32, null, v30, v30, 1.0
	v_div_scale_f32 v37, vcc_lo, 1.0, v30, 1.0
	s_delay_alu instid0(VALU_DEP_3) | instskip(NEXT) | instid1(VALU_DEP_2)
	v_rcp_f32_e32 v36, v34
	v_rcp_f32_e32 v35, v32
	v_div_scale_f32 v38, s0, 1.0, v31, 1.0
	s_delay_alu instid0(TRANS32_DEP_2) | instskip(NEXT) | instid1(TRANS32_DEP_1)
	v_fma_f32 v15, -v34, v36, 1.0
	v_fma_f32 v14, -v32, v35, 1.0
	s_delay_alu instid0(VALU_DEP_1) | instskip(SKIP_4) | instid1(VALU_DEP_1)
	v_dual_fmac_f32 v36, v15, v36 :: v_dual_fmac_f32 v35, v14, v35
	ds_load_2addr_b64 v[14:17], v33 offset0:16 offset1:32
	ds_load_b64 v[26:27], v6
	ds_load_b64 v[28:29], v8 offset:256
	v_dual_mul_f32 v40, v38, v36 :: v_dual_mul_f32 v39, v37, v35
	v_dual_fma_f32 v33, -v34, v40, v38 :: v_dual_fma_f32 v18, -v32, v39, v37
	s_delay_alu instid0(VALU_DEP_1)
	v_dual_fmac_f32 v40, v33, v36 :: v_dual_fmac_f32 v39, v18, v35
	ds_load_2addr_b64 v[18:21], v9 offset0:16 offset1:32
	s_wait_dscnt 0x5
	v_dual_mul_f32 v9, v5, v23 :: v_dual_mul_f32 v5, v5, -v22
	s_wait_dscnt 0x4
	v_dual_mul_f32 v33, v13, -v24 :: v_dual_fma_f32 v32, -v32, v39, v37
	v_dual_fma_f32 v34, -v34, v40, v38 :: v_dual_mul_f32 v13, v13, v25
	s_delay_alu instid0(VALU_DEP_3) | instskip(SKIP_1) | instid1(VALU_DEP_4)
	v_fmac_f32_e32 v9, v22, v4
	v_fmac_f32_e32 v5, v23, v4
	v_div_fmas_f32 v32, v32, v35, v39
	s_mov_b32 vcc_lo, s0
	v_fmac_f32_e32 v13, v24, v12
	v_div_fmas_f32 v34, v34, v36, v40
	v_cmp_gt_u32_e32 vcc_lo, 4, v0
	v_div_fixup_f32 v23, v32, v30, 1.0
	s_wait_dscnt 0x0
	; wave barrier
	s_delay_alu instid0(VALU_DEP_3) | instskip(NEXT) | instid1(VALU_DEP_2)
	v_div_fixup_f32 v32, v34, v31, 1.0
	v_dual_fmac_f32 v33, v25, v12 :: v_dual_mul_f32 v22, v23, v9
	v_mul_f32_e32 v4, v5, v23
	s_delay_alu instid0(VALU_DEP_2) | instskip(NEXT) | instid1(VALU_DEP_2)
	v_dual_mul_f32 v12, v33, v32 :: v_dual_mul_f32 v32, v32, v13
	v_pk_mul_f32 v[24:25], v[4:5], v[14:15] op_sel:[0,1] op_sel_hi:[0,0] neg_lo:[0,1]
	v_pk_mul_f32 v[30:31], v[4:5], v[16:17] op_sel:[0,1] op_sel_hi:[0,0] neg_lo:[0,1]
	v_pk_mul_f32 v[4:5], v[4:5], v[2:3] op_sel:[0,1] op_sel_hi:[0,0] neg_hi:[0,1]
	s_delay_alu instid0(VALU_DEP_4)
	v_pk_mul_f32 v[34:35], v[12:13], v[10:11] op_sel:[0,1] op_sel_hi:[0,0] neg_lo:[0,1]
	v_pk_mul_f32 v[36:37], v[12:13], v[20:21] op_sel:[0,1] op_sel_hi:[0,0] neg_lo:[0,1]
	v_pk_fma_f32 v[14:15], v[14:15], v[22:23], v[24:25] op_sel_hi:[1,0,1]
	v_pk_fma_f32 v[16:17], v[16:17], v[22:23], v[30:31] op_sel_hi:[1,0,1]
	v_pk_mul_f32 v[12:13], v[12:13], v[18:19] op_sel:[0,1] op_sel_hi:[0,0] neg_hi:[0,1]
	v_pk_fma_f32 v[10:11], v[10:11], v[32:33], v[34:35] op_sel_hi:[1,0,1]
	v_pk_fma_f32 v[20:21], v[20:21], v[32:33], v[36:37] op_sel_hi:[1,0,1]
	v_pk_add_f32 v[14:15], v[26:27], v[14:15] neg_lo:[0,1] neg_hi:[0,1]
	v_pk_add_f32 v[16:17], v[28:29], v[16:17] neg_lo:[0,1] neg_hi:[0,1]
	v_pk_fma_f32 v[2:3], v[2:3], v[22:23], v[4:5] op_sel_hi:[1,0,1] neg_lo:[1,0,0] neg_hi:[1,0,0]
	v_pk_fma_f32 v[4:5], v[18:19], v[32:33], v[12:13] op_sel_hi:[1,0,1] neg_lo:[1,0,0] neg_hi:[1,0,0]
	s_delay_alu instid0(VALU_DEP_4) | instskip(NEXT) | instid1(VALU_DEP_4)
	v_pk_add_f32 v[10:11], v[14:15], v[10:11] neg_lo:[0,1] neg_hi:[0,1]
	v_pk_add_f32 v[14:15], v[16:17], v[20:21] neg_lo:[0,1] neg_hi:[0,1]
	ds_store_b64 v6, v[10:11]
	ds_store_b64 v8, v[14:15] offset:256
	ds_store_b64 v8, v[2:3]
	ds_store_b64 v7, v[4:5]
	s_wait_dscnt 0x0
	; wave barrier
	s_and_saveexec_b32 s0, vcc_lo
	s_cbranch_execz .LBB52_14
; %bb.9:
	v_or_b32_e32 v4, 4, v0
	v_or_b32_e32 v5, 0x100, v8
	s_mov_b32 s1, exec_lo
                                        ; implicit-def: $vgpr2_vgpr3
	s_delay_alu instid0(VALU_DEP_2)
	v_cmpx_le_i32_e64 s3, v4
	s_xor_b32 s1, exec_lo, s1
	s_cbranch_execz .LBB52_11
; %bb.10:
	ds_load_b64 v[2:3], v6
	s_wait_dscnt 0x0
	v_mul_f32_e32 v9, v3, v3
	s_delay_alu instid0(VALU_DEP_1) | instskip(NEXT) | instid1(VALU_DEP_1)
	v_fmac_f32_e32 v9, v2, v2
	v_div_scale_f32 v6, null, v9, v9, 1.0
	s_delay_alu instid0(VALU_DEP_1) | instskip(SKIP_1) | instid1(TRANS32_DEP_1)
	v_rcp_f32_e32 v7, v6
	v_nop
	v_fma_f32 v4, -v6, v7, 1.0
	s_delay_alu instid0(VALU_DEP_1) | instskip(SKIP_3) | instid1(VALU_DEP_1)
	v_fmac_f32_e32 v7, v4, v7
	v_div_scale_f32 v10, vcc_lo, 1.0, v9, 1.0
	ds_load_b64 v[4:5], v5
	v_mul_f32_e32 v11, v10, v7
	v_fma_f32 v12, -v6, v11, v10
	s_delay_alu instid0(VALU_DEP_1) | instskip(NEXT) | instid1(VALU_DEP_1)
	v_fmac_f32_e32 v11, v12, v7
	v_fma_f32 v6, -v6, v11, v10
	s_delay_alu instid0(VALU_DEP_1) | instskip(SKIP_2) | instid1(VALU_DEP_2)
	v_div_fmas_f32 v10, v6, v7, v11
	s_wait_dscnt 0x0
	v_pk_mul_f32 v[6:7], v[2:3], v[4:5] op_sel:[1,1] op_sel_hi:[1,0] neg_hi:[0,1]
	v_div_fixup_f32 v10, v10, v9, 1.0
	s_delay_alu instid0(VALU_DEP_2) | instskip(NEXT) | instid1(VALU_DEP_1)
	v_pk_fma_f32 v[2:3], v[4:5], v[2:3], v[6:7] op_sel_hi:[1,0,1]
                                        ; implicit-def: $vgpr6
                                        ; implicit-def: $vgpr7
                                        ; implicit-def: $vgpr5
                                        ; implicit-def: $vgpr4
	v_pk_mul_f32 v[2:3], v[10:11], v[2:3] op_sel_hi:[0,1]
.LBB52_11:
	s_and_not1_saveexec_b32 s1, s1
	s_cbranch_execz .LBB52_13
; %bb.12:
	ds_load_2addr_b64 v[10:13], v6 offset1:4
	ds_load_b64 v[2:3], v7
	ds_load_b32 v0, v5
	ds_load_b64 v[6:7], v5
	ds_load_b64 v[14:15], v8 offset:32
	s_wait_dscnt 0x4
	v_pk_mul_f32 v[16:17], v[10:11], v[12:13] op_sel:[1,1] op_sel_hi:[1,0] neg_lo:[0,1]
	s_wait_dscnt 0x0
	v_pk_mul_f32 v[18:19], v[14:15], v[2:3] op_sel:[1,1] op_sel_hi:[1,0] neg_lo:[0,1]
	s_delay_alu instid0(VALU_DEP_2) | instskip(SKIP_1) | instid1(VALU_DEP_3)
	v_pk_fma_f32 v[16:17], v[12:13], v[10:11], v[16:17] op_sel_hi:[1,0,1]
	v_pk_mul_f32 v[28:29], v[14:15], v[6:7] op_sel:[1,1] op_sel_hi:[1,0] neg_lo:[0,1]
	v_pk_fma_f32 v[18:19], v[2:3], v[14:15], v[18:19] op_sel_hi:[1,0,1]
	s_delay_alu instid0(VALU_DEP_2) | instskip(NEXT) | instid1(VALU_DEP_2)
	v_pk_fma_f32 v[6:7], v[6:7], v[14:15], v[28:29] op_sel_hi:[1,0,1]
	v_pk_add_f32 v[16:17], v[16:17], v[18:19] neg_lo:[0,1] neg_hi:[0,1]
	ds_load_2addr_b32 v[18:19], v5 offset0:1 offset1:8
	ds_load_b32 v20, v5 offset:36
	ds_load_b64 v[22:23], v5 offset:32
	v_mul_f32_e32 v9, v17, v17
	s_delay_alu instid0(VALU_DEP_1) | instskip(NEXT) | instid1(VALU_DEP_1)
	v_fmac_f32_e32 v9, v16, v16
	v_div_scale_f32 v26, null, v9, v9, 1.0
	s_wait_dscnt 0x2
	v_pk_mul_f32 v[24:25], v[18:19], v[12:13] op_sel:[0,1] op_sel_hi:[0,0] neg_lo:[0,1]
	s_delay_alu instid0(VALU_DEP_2) | instskip(SKIP_1) | instid1(VALU_DEP_2)
	v_rcp_f32_e32 v30, v26
	v_mov_b32_e32 v18, v19
	v_pk_fma_f32 v[12:13], v[12:13], v[0:1], v[24:25] op_sel_hi:[1,0,1]
	v_fma_f32 v0, v16, 0, -v17
	s_delay_alu instid0(TRANS32_DEP_1) | instskip(NEXT) | instid1(VALU_DEP_1)
	v_fma_f32 v21, -v26, v30, 1.0
	v_fmac_f32_e32 v30, v21, v30
	v_div_scale_f32 v27, vcc_lo, 1.0, v9, 1.0
	s_delay_alu instid0(VALU_DEP_1) | instskip(NEXT) | instid1(VALU_DEP_1)
	v_mul_f32_e32 v5, v27, v30
	v_fma_f32 v21, -v26, v5, v27
	s_delay_alu instid0(VALU_DEP_1) | instskip(SKIP_2) | instid1(VALU_DEP_2)
	v_fmac_f32_e32 v5, v21, v30
	s_wait_dscnt 0x1
	v_pk_mul_f32 v[20:21], v[20:21], v[2:3] op_sel:[0,1] op_sel_hi:[0,0] neg_lo:[0,1]
	v_fma_f32 v19, -v26, v5, v27
	s_wait_dscnt 0x0
	v_pk_mul_f32 v[26:27], v[10:11], v[22:23] op_sel:[1,1] op_sel_hi:[1,0] neg_lo:[0,1]
	s_delay_alu instid0(VALU_DEP_2) | instskip(NEXT) | instid1(VALU_DEP_2)
	v_div_fmas_f32 v5, v19, v30, v5
	v_pk_fma_f32 v[10:11], v[22:23], v[10:11], v[26:27] op_sel_hi:[1,0,1]
	s_delay_alu instid0(VALU_DEP_2) | instskip(SKIP_1) | instid1(VALU_DEP_3)
	v_div_fixup_f32 v5, v5, v9, 1.0
	v_fma_f32 v9, 0, v17, v16
	v_pk_add_f32 v[6:7], v[10:11], v[6:7] neg_lo:[0,1] neg_hi:[0,1]
	s_delay_alu instid0(VALU_DEP_3) | instskip(SKIP_1) | instid1(VALU_DEP_4)
	v_mul_f32_e32 v0, v0, v5
	v_pk_fma_f32 v[2:3], v[2:3], v[18:19], v[20:21] op_sel_hi:[1,0,1]
	v_mul_f32_e32 v10, v9, v5
	s_delay_alu instid0(VALU_DEP_3) | instskip(NEXT) | instid1(VALU_DEP_3)
	v_pk_mul_f32 v[14:15], v[0:1], v[6:7] op_sel:[0,1] op_sel_hi:[0,0] neg_lo:[0,1]
	v_pk_add_f32 v[2:3], v[12:13], v[2:3] neg_lo:[0,1] neg_hi:[0,1]
	s_delay_alu instid0(VALU_DEP_1) | instskip(SKIP_1) | instid1(VALU_DEP_2)
	v_pk_mul_f32 v[12:13], v[0:1], v[2:3] op_sel:[0,1] op_sel_hi:[0,0] neg_lo:[0,1]
	v_mov_b32_e32 v0, v4
	v_pk_fma_f32 v[12:13], v[2:3], v[10:11], v[12:13] op_sel_hi:[1,0,1]
	v_pk_fma_f32 v[2:3], v[6:7], v[10:11], v[14:15] op_sel_hi:[1,0,1]
	ds_store_b64 v8, v[12:13] offset:192
.LBB52_13:
	s_or_b32 exec_lo, exec_lo, s1
	v_lshlrev_b32_e32 v0, 3, v0
	ds_store_b64 v0, v[2:3] offset:192
.LBB52_14:
	s_or_b32 exec_lo, exec_lo, s0
	s_wait_dscnt 0x0
	; wave barrier
	s_and_saveexec_b32 s0, s2
	s_cbranch_execz .LBB52_16
; %bb.15:
	ds_load_b64 v[2:3], v8 offset:192
	s_wait_dscnt 0x0
	s_wait_kmcnt 0x0
	global_store_b64 v1, v[2:3], s[4:5] scale_offset
.LBB52_16:
	s_endpgm
	.section	.rodata,"a",@progbits
	.p2align	6, 0x0
	.amdhsa_kernel _ZN9rocsparseL44gtsv_nopivot_strided_batch_pcr_shared_kernelILj8E21rocsparse_complex_numIfEEEviiiPKT0_S5_S5_PS3_
		.amdhsa_group_segment_fixed_size 320
		.amdhsa_private_segment_fixed_size 0
		.amdhsa_kernarg_size 48
		.amdhsa_user_sgpr_count 2
		.amdhsa_user_sgpr_dispatch_ptr 0
		.amdhsa_user_sgpr_queue_ptr 0
		.amdhsa_user_sgpr_kernarg_segment_ptr 1
		.amdhsa_user_sgpr_dispatch_id 0
		.amdhsa_user_sgpr_kernarg_preload_length 0
		.amdhsa_user_sgpr_kernarg_preload_offset 0
		.amdhsa_user_sgpr_private_segment_size 0
		.amdhsa_wavefront_size32 1
		.amdhsa_uses_dynamic_stack 0
		.amdhsa_enable_private_segment 0
		.amdhsa_system_sgpr_workgroup_id_x 1
		.amdhsa_system_sgpr_workgroup_id_y 0
		.amdhsa_system_sgpr_workgroup_id_z 0
		.amdhsa_system_sgpr_workgroup_info 0
		.amdhsa_system_vgpr_workitem_id 0
		.amdhsa_next_free_vgpr 43
		.amdhsa_next_free_sgpr 8
		.amdhsa_named_barrier_count 0
		.amdhsa_reserve_vcc 1
		.amdhsa_float_round_mode_32 0
		.amdhsa_float_round_mode_16_64 0
		.amdhsa_float_denorm_mode_32 3
		.amdhsa_float_denorm_mode_16_64 3
		.amdhsa_fp16_overflow 0
		.amdhsa_memory_ordered 1
		.amdhsa_forward_progress 1
		.amdhsa_inst_pref_size 17
		.amdhsa_round_robin_scheduling 0
		.amdhsa_exception_fp_ieee_invalid_op 0
		.amdhsa_exception_fp_denorm_src 0
		.amdhsa_exception_fp_ieee_div_zero 0
		.amdhsa_exception_fp_ieee_overflow 0
		.amdhsa_exception_fp_ieee_underflow 0
		.amdhsa_exception_fp_ieee_inexact 0
		.amdhsa_exception_int_div_zero 0
	.end_amdhsa_kernel
	.section	.text._ZN9rocsparseL44gtsv_nopivot_strided_batch_pcr_shared_kernelILj8E21rocsparse_complex_numIfEEEviiiPKT0_S5_S5_PS3_,"axG",@progbits,_ZN9rocsparseL44gtsv_nopivot_strided_batch_pcr_shared_kernelILj8E21rocsparse_complex_numIfEEEviiiPKT0_S5_S5_PS3_,comdat
.Lfunc_end52:
	.size	_ZN9rocsparseL44gtsv_nopivot_strided_batch_pcr_shared_kernelILj8E21rocsparse_complex_numIfEEEviiiPKT0_S5_S5_PS3_, .Lfunc_end52-_ZN9rocsparseL44gtsv_nopivot_strided_batch_pcr_shared_kernelILj8E21rocsparse_complex_numIfEEEviiiPKT0_S5_S5_PS3_
                                        ; -- End function
	.set _ZN9rocsparseL44gtsv_nopivot_strided_batch_pcr_shared_kernelILj8E21rocsparse_complex_numIfEEEviiiPKT0_S5_S5_PS3_.num_vgpr, 43
	.set _ZN9rocsparseL44gtsv_nopivot_strided_batch_pcr_shared_kernelILj8E21rocsparse_complex_numIfEEEviiiPKT0_S5_S5_PS3_.num_agpr, 0
	.set _ZN9rocsparseL44gtsv_nopivot_strided_batch_pcr_shared_kernelILj8E21rocsparse_complex_numIfEEEviiiPKT0_S5_S5_PS3_.numbered_sgpr, 8
	.set _ZN9rocsparseL44gtsv_nopivot_strided_batch_pcr_shared_kernelILj8E21rocsparse_complex_numIfEEEviiiPKT0_S5_S5_PS3_.num_named_barrier, 0
	.set _ZN9rocsparseL44gtsv_nopivot_strided_batch_pcr_shared_kernelILj8E21rocsparse_complex_numIfEEEviiiPKT0_S5_S5_PS3_.private_seg_size, 0
	.set _ZN9rocsparseL44gtsv_nopivot_strided_batch_pcr_shared_kernelILj8E21rocsparse_complex_numIfEEEviiiPKT0_S5_S5_PS3_.uses_vcc, 1
	.set _ZN9rocsparseL44gtsv_nopivot_strided_batch_pcr_shared_kernelILj8E21rocsparse_complex_numIfEEEviiiPKT0_S5_S5_PS3_.uses_flat_scratch, 0
	.set _ZN9rocsparseL44gtsv_nopivot_strided_batch_pcr_shared_kernelILj8E21rocsparse_complex_numIfEEEviiiPKT0_S5_S5_PS3_.has_dyn_sized_stack, 0
	.set _ZN9rocsparseL44gtsv_nopivot_strided_batch_pcr_shared_kernelILj8E21rocsparse_complex_numIfEEEviiiPKT0_S5_S5_PS3_.has_recursion, 0
	.set _ZN9rocsparseL44gtsv_nopivot_strided_batch_pcr_shared_kernelILj8E21rocsparse_complex_numIfEEEviiiPKT0_S5_S5_PS3_.has_indirect_call, 0
	.section	.AMDGPU.csdata,"",@progbits
; Kernel info:
; codeLenInByte = 2096
; TotalNumSgprs: 10
; NumVgprs: 43
; ScratchSize: 0
; MemoryBound: 0
; FloatMode: 240
; IeeeMode: 1
; LDSByteSize: 320 bytes/workgroup (compile time only)
; SGPRBlocks: 0
; VGPRBlocks: 2
; NumSGPRsForWavesPerEU: 10
; NumVGPRsForWavesPerEU: 43
; NamedBarCnt: 0
; Occupancy: 16
; WaveLimiterHint : 0
; COMPUTE_PGM_RSRC2:SCRATCH_EN: 0
; COMPUTE_PGM_RSRC2:USER_SGPR: 2
; COMPUTE_PGM_RSRC2:TRAP_HANDLER: 0
; COMPUTE_PGM_RSRC2:TGID_X_EN: 1
; COMPUTE_PGM_RSRC2:TGID_Y_EN: 0
; COMPUTE_PGM_RSRC2:TGID_Z_EN: 0
; COMPUTE_PGM_RSRC2:TIDIG_COMP_CNT: 0
	.section	.text._ZN9rocsparseL44gtsv_nopivot_strided_batch_pcr_shared_kernelILj16E21rocsparse_complex_numIfEEEviiiPKT0_S5_S5_PS3_,"axG",@progbits,_ZN9rocsparseL44gtsv_nopivot_strided_batch_pcr_shared_kernelILj16E21rocsparse_complex_numIfEEEviiiPKT0_S5_S5_PS3_,comdat
	.globl	_ZN9rocsparseL44gtsv_nopivot_strided_batch_pcr_shared_kernelILj16E21rocsparse_complex_numIfEEEviiiPKT0_S5_S5_PS3_ ; -- Begin function _ZN9rocsparseL44gtsv_nopivot_strided_batch_pcr_shared_kernelILj16E21rocsparse_complex_numIfEEEviiiPKT0_S5_S5_PS3_
	.p2align	8
	.type	_ZN9rocsparseL44gtsv_nopivot_strided_batch_pcr_shared_kernelILj16E21rocsparse_complex_numIfEEEviiiPKT0_S5_S5_PS3_,@function
_ZN9rocsparseL44gtsv_nopivot_strided_batch_pcr_shared_kernelILj16E21rocsparse_complex_numIfEEEviiiPKT0_S5_S5_PS3_: ; @_ZN9rocsparseL44gtsv_nopivot_strided_batch_pcr_shared_kernelILj16E21rocsparse_complex_numIfEEEviiiPKT0_S5_S5_PS3_
; %bb.0:
	s_clause 0x1
	s_load_b32 s2, s[0:1], 0x8
	s_load_b32 s3, s[0:1], 0x0
	s_bfe_u32 s4, ttmp6, 0x4000c
	s_and_b32 s5, ttmp6, 15
	s_add_co_i32 s4, s4, 1
	s_getreg_b32 s6, hwreg(HW_REG_IB_STS2, 6, 4)
	s_mul_i32 s4, ttmp9, s4
	v_dual_mov_b32 v2, 0 :: v_dual_mov_b32 v6, 0
	s_add_co_i32 s5, s5, s4
	s_cmp_eq_u32 s6, 0
	v_mov_b32_e32 v7, 0
	s_cselect_b32 s4, ttmp9, s5
	s_wait_kmcnt 0x0
	v_mad_u32 v1, s2, s4, v0
	v_cmp_gt_i32_e64 s2, s3, v0
	s_and_saveexec_b32 s4, s2
	s_cbranch_execz .LBB53_2
; %bb.1:
	s_load_b64 s[6:7], s[0:1], 0x10
	s_wait_kmcnt 0x0
	global_load_b64 v[6:7], v1, s[6:7] scale_offset
.LBB53_2:
	s_wait_xcnt 0x0
	s_or_b32 exec_lo, exec_lo, s4
	v_dual_lshlrev_b32 v8, 3, v0 :: v_dual_mov_b32 v4, 0
	v_mov_b32_e32 v5, 0
	s_wait_loadcnt 0x0
	ds_store_b64 v8, v[6:7]
	s_and_saveexec_b32 s4, s2
	s_cbranch_execz .LBB53_4
; %bb.3:
	s_load_b64 s[6:7], s[0:1], 0x18
	s_wait_kmcnt 0x0
	global_load_b64 v[4:5], v1, s[6:7] scale_offset
.LBB53_4:
	s_wait_xcnt 0x0
	s_or_b32 exec_lo, exec_lo, s4
	s_load_b64 s[4:5], s[0:1], 0x28
	v_mov_b32_e32 v3, 0
	s_wait_loadcnt 0x0
	ds_store_b64 v8, v[4:5] offset:128
	s_and_saveexec_b32 s6, s2
	s_cbranch_execz .LBB53_6
; %bb.5:
	s_wait_xcnt 0x0
	s_load_b64 s[0:1], s[0:1], 0x20
	s_wait_kmcnt 0x0
	global_load_b64 v[2:3], v1, s[0:1] scale_offset
.LBB53_6:
	s_wait_xcnt 0x0
	s_or_b32 exec_lo, exec_lo, s6
	v_or_b32_e32 v6, 0x80, v8
	v_or_b32_e32 v7, 0x100, v8
	v_dual_mov_b32 v4, 0 :: v_dual_mov_b32 v5, 0
	s_wait_loadcnt 0x0
	ds_store_b64 v8, v[2:3] offset:256
	s_and_saveexec_b32 s0, s2
	s_cbranch_execz .LBB53_8
; %bb.7:
	s_wait_kmcnt 0x0
	global_load_b64 v[4:5], v1, s[4:5] scale_offset
.LBB53_8:
	s_wait_xcnt 0x0
	s_or_b32 exec_lo, exec_lo, s0
	s_add_co_i32 s1, s3, -1
	v_sub_nc_u32_e64 v2, v0, 1 clamp
	v_add_min_i32_e64 v3, v0, 1, s1
	s_wait_loadcnt 0x0
	ds_store_b64 v8, v[4:5] offset:512
	s_wait_dscnt 0x0
	; wave barrier
	v_dual_lshlrev_b32 v9, 3, v2 :: v_dual_lshlrev_b32 v18, 3, v3
	v_sub_nc_u32_e64 v40, v0, 2 clamp
	v_add_min_i32_e64 v42, v0, 2, s1
	ds_load_2addr_b64 v[2:5], v9 offset1:16
	ds_load_2addr_b64 v[10:13], v18 offset1:16
	ds_load_b64 v[22:23], v8
	ds_load_b64 v[24:25], v7
	;; [unrolled: 1-line block ×3, first 2 shown]
	ds_load_b64 v[28:29], v8 offset:512
	s_wait_dscnt 0x4
	v_mul_f32_e32 v31, v13, v13
	s_delay_alu instid0(VALU_DEP_1) | instskip(NEXT) | instid1(VALU_DEP_1)
	v_dual_mul_f32 v30, v5, v5 :: v_dual_fmac_f32 v31, v12, v12
	v_fmac_f32_e32 v30, v4, v4
	s_delay_alu instid0(VALU_DEP_2) | instskip(NEXT) | instid1(VALU_DEP_2)
	v_div_scale_f32 v33, null, v31, v31, 1.0
	v_div_scale_f32 v32, null, v30, v30, 1.0
	v_div_scale_f32 v36, vcc_lo, 1.0, v30, 1.0
	s_delay_alu instid0(VALU_DEP_3) | instskip(NEXT) | instid1(VALU_DEP_2)
	v_rcp_f32_e32 v35, v33
	v_rcp_f32_e32 v34, v32
	v_div_scale_f32 v37, s0, 1.0, v31, 1.0
	s_delay_alu instid0(TRANS32_DEP_2) | instskip(NEXT) | instid1(TRANS32_DEP_1)
	v_fma_f32 v15, -v33, v35, 1.0
	v_fma_f32 v14, -v32, v34, 1.0
	s_delay_alu instid0(VALU_DEP_1) | instskip(SKIP_4) | instid1(VALU_DEP_2)
	v_dual_fmac_f32 v35, v15, v35 :: v_dual_fmac_f32 v34, v14, v34
	ds_load_2addr_b64 v[14:17], v9 offset0:32 offset1:64
	s_wait_dscnt 0x4
	v_dual_mul_f32 v9, v5, v23 :: v_dual_mul_f32 v5, v5, -v22
	v_dual_mul_f32 v39, v37, v35 :: v_dual_mul_f32 v38, v36, v34
	v_fmac_f32_e32 v5, v23, v4
	s_delay_alu instid0(VALU_DEP_2) | instskip(NEXT) | instid1(VALU_DEP_1)
	v_dual_fma_f32 v41, -v33, v39, v37 :: v_dual_fma_f32 v19, -v32, v38, v36
	v_dual_fmac_f32 v39, v41, v35 :: v_dual_fmac_f32 v38, v19, v34
	ds_load_2addr_b64 v[18:21], v18 offset0:32 offset1:64
	s_wait_dscnt 0x0
	; wave barrier
	v_sub_nc_u32_e64 v41, v0, 4 clamp
	v_dual_fma_f32 v32, -v32, v38, v36 :: v_dual_mul_f32 v36, v13, -v24
	v_mul_f32_e32 v13, v13, v25
	s_delay_alu instid0(VALU_DEP_2) | instskip(NEXT) | instid1(VALU_DEP_2)
	v_div_fmas_f32 v32, v32, v34, v38
	v_dual_fmac_f32 v36, v25, v12 :: v_dual_fmac_f32 v13, v24, v12
	v_fma_f32 v33, -v33, v39, v37
	s_mov_b32 vcc_lo, s0
	s_delay_alu instid0(VALU_DEP_3) | instskip(SKIP_1) | instid1(VALU_DEP_3)
	v_div_fixup_f32 v23, v32, v30, 1.0
	v_fmac_f32_e32 v9, v22, v4
	v_div_fmas_f32 v33, v33, v35, v39
	s_delay_alu instid0(VALU_DEP_2) | instskip(SKIP_1) | instid1(VALU_DEP_3)
	v_dual_mul_f32 v4, v5, v23 :: v_dual_mul_f32 v22, v23, v9
	v_lshlrev_b32_e32 v9, 3, v42
	v_div_fixup_f32 v32, v33, v31, 1.0
	v_lshlrev_b32_e32 v33, 3, v40
	s_delay_alu instid0(VALU_DEP_4)
	v_pk_mul_f32 v[24:25], v[4:5], v[14:15] op_sel:[0,1] op_sel_hi:[0,0] neg_lo:[0,1]
	v_pk_mul_f32 v[30:31], v[4:5], v[16:17] op_sel:[0,1] op_sel_hi:[0,0] neg_lo:[0,1]
	v_pk_mul_f32 v[4:5], v[4:5], v[2:3] op_sel:[0,1] op_sel_hi:[0,0] neg_hi:[0,1]
	v_mul_f32_e32 v12, v36, v32
	v_mul_f32_e32 v32, v32, v13
	v_pk_fma_f32 v[14:15], v[14:15], v[22:23], v[24:25] op_sel_hi:[1,0,1]
	v_pk_fma_f32 v[16:17], v[16:17], v[22:23], v[30:31] op_sel_hi:[1,0,1]
	v_pk_fma_f32 v[2:3], v[2:3], v[22:23], v[4:5] op_sel_hi:[1,0,1] neg_lo:[1,0,0] neg_hi:[1,0,0]
	v_pk_mul_f32 v[34:35], v[12:13], v[10:11] op_sel:[0,1] op_sel_hi:[0,0] neg_lo:[0,1]
	v_pk_mul_f32 v[36:37], v[12:13], v[20:21] op_sel:[0,1] op_sel_hi:[0,0] neg_lo:[0,1]
	v_pk_add_f32 v[14:15], v[26:27], v[14:15] neg_lo:[0,1] neg_hi:[0,1]
	v_pk_add_f32 v[16:17], v[28:29], v[16:17] neg_lo:[0,1] neg_hi:[0,1]
	v_pk_mul_f32 v[12:13], v[12:13], v[18:19] op_sel:[0,1] op_sel_hi:[0,0] neg_hi:[0,1]
	v_pk_fma_f32 v[10:11], v[10:11], v[32:33], v[34:35] op_sel_hi:[1,0,1]
	v_pk_fma_f32 v[20:21], v[20:21], v[32:33], v[36:37] op_sel_hi:[1,0,1]
	v_add_min_i32_e64 v42, v0, 4, s1
	s_delay_alu instid0(VALU_DEP_4) | instskip(NEXT) | instid1(VALU_DEP_4)
	v_pk_fma_f32 v[4:5], v[18:19], v[32:33], v[12:13] op_sel_hi:[1,0,1] neg_lo:[1,0,0] neg_hi:[1,0,0]
	v_pk_add_f32 v[10:11], v[14:15], v[10:11] neg_lo:[0,1] neg_hi:[0,1]
	s_delay_alu instid0(VALU_DEP_4)
	v_pk_add_f32 v[14:15], v[16:17], v[20:21] neg_lo:[0,1] neg_hi:[0,1]
	ds_store_b64 v6, v[10:11]
	ds_store_b64 v8, v[14:15] offset:512
	ds_store_b64 v8, v[2:3]
	ds_store_b64 v7, v[4:5]
	s_wait_dscnt 0x0
	; wave barrier
	ds_load_2addr_b64 v[2:5], v33 offset1:16
	ds_load_2addr_b64 v[10:13], v9 offset1:16
	ds_load_b64 v[22:23], v8
	ds_load_b64 v[24:25], v7
	s_wait_dscnt 0x2
	v_mul_f32_e32 v31, v13, v13
	s_delay_alu instid0(VALU_DEP_1) | instskip(NEXT) | instid1(VALU_DEP_1)
	v_dual_mul_f32 v30, v5, v5 :: v_dual_fmac_f32 v31, v12, v12
	v_fmac_f32_e32 v30, v4, v4
	s_delay_alu instid0(VALU_DEP_2) | instskip(NEXT) | instid1(VALU_DEP_2)
	v_div_scale_f32 v34, null, v31, v31, 1.0
	v_div_scale_f32 v32, null, v30, v30, 1.0
	v_div_scale_f32 v37, vcc_lo, 1.0, v30, 1.0
	s_delay_alu instid0(VALU_DEP_3) | instskip(NEXT) | instid1(VALU_DEP_2)
	v_rcp_f32_e32 v36, v34
	v_rcp_f32_e32 v35, v32
	v_div_scale_f32 v38, s0, 1.0, v31, 1.0
	s_delay_alu instid0(TRANS32_DEP_2) | instskip(NEXT) | instid1(TRANS32_DEP_1)
	v_fma_f32 v15, -v34, v36, 1.0
	v_fma_f32 v14, -v32, v35, 1.0
	s_delay_alu instid0(VALU_DEP_1) | instskip(SKIP_4) | instid1(VALU_DEP_1)
	v_dual_fmac_f32 v36, v15, v36 :: v_dual_fmac_f32 v35, v14, v35
	ds_load_2addr_b64 v[14:17], v33 offset0:32 offset1:64
	ds_load_b64 v[26:27], v6
	ds_load_b64 v[28:29], v8 offset:512
	v_dual_mul_f32 v40, v38, v36 :: v_dual_mul_f32 v39, v37, v35
	v_dual_fma_f32 v33, -v34, v40, v38 :: v_dual_fma_f32 v18, -v32, v39, v37
	s_delay_alu instid0(VALU_DEP_1)
	v_dual_fmac_f32 v40, v33, v36 :: v_dual_fmac_f32 v39, v18, v35
	ds_load_2addr_b64 v[18:21], v9 offset0:32 offset1:64
	s_wait_dscnt 0x5
	v_dual_mul_f32 v9, v5, v23 :: v_dual_mul_f32 v5, v5, -v22
	s_wait_dscnt 0x4
	v_dual_mul_f32 v33, v13, -v24 :: v_dual_fma_f32 v32, -v32, v39, v37
	v_dual_fma_f32 v34, -v34, v40, v38 :: v_dual_mul_f32 v13, v13, v25
	s_delay_alu instid0(VALU_DEP_3) | instskip(NEXT) | instid1(VALU_DEP_3)
	v_dual_fmac_f32 v5, v23, v4 :: v_dual_lshlrev_b32 v38, 3, v41
	v_div_fmas_f32 v32, v32, v35, v39
	s_mov_b32 vcc_lo, s0
	s_delay_alu instid0(VALU_DEP_3) | instskip(SKIP_4) | instid1(VALU_DEP_3)
	v_fmac_f32_e32 v13, v24, v12
	v_div_fmas_f32 v34, v34, v36, v40
	s_wait_dscnt 0x0
	v_div_fixup_f32 v23, v32, v30, 1.0
	v_fmac_f32_e32 v9, v22, v4
	; wave barrier
	v_div_fixup_f32 v32, v34, v31, 1.0
	s_delay_alu instid0(VALU_DEP_3) | instskip(NEXT) | instid1(VALU_DEP_3)
	v_mul_f32_e32 v4, v5, v23
	v_dual_fmac_f32 v33, v25, v12 :: v_dual_mul_f32 v22, v23, v9
	v_lshlrev_b32_e32 v9, 3, v42
	s_delay_alu instid0(VALU_DEP_3) | instskip(NEXT) | instid1(VALU_DEP_3)
	v_pk_mul_f32 v[24:25], v[4:5], v[14:15] op_sel:[0,1] op_sel_hi:[0,0] neg_lo:[0,1]
	v_dual_mul_f32 v12, v33, v32 :: v_dual_mul_f32 v32, v32, v13
	v_pk_mul_f32 v[30:31], v[4:5], v[16:17] op_sel:[0,1] op_sel_hi:[0,0] neg_lo:[0,1]
	v_pk_mul_f32 v[4:5], v[4:5], v[2:3] op_sel:[0,1] op_sel_hi:[0,0] neg_hi:[0,1]
	s_delay_alu instid0(VALU_DEP_4) | instskip(NEXT) | instid1(VALU_DEP_4)
	v_pk_fma_f32 v[14:15], v[14:15], v[22:23], v[24:25] op_sel_hi:[1,0,1]
	v_pk_mul_f32 v[34:35], v[12:13], v[10:11] op_sel:[0,1] op_sel_hi:[0,0] neg_lo:[0,1]
	v_pk_mul_f32 v[36:37], v[12:13], v[20:21] op_sel:[0,1] op_sel_hi:[0,0] neg_lo:[0,1]
	v_pk_fma_f32 v[16:17], v[16:17], v[22:23], v[30:31] op_sel_hi:[1,0,1]
	v_pk_mul_f32 v[12:13], v[12:13], v[18:19] op_sel:[0,1] op_sel_hi:[0,0] neg_hi:[0,1]
	v_pk_add_f32 v[14:15], v[26:27], v[14:15] neg_lo:[0,1] neg_hi:[0,1]
	v_pk_fma_f32 v[10:11], v[10:11], v[32:33], v[34:35] op_sel_hi:[1,0,1]
	v_pk_fma_f32 v[20:21], v[20:21], v[32:33], v[36:37] op_sel_hi:[1,0,1]
	v_pk_add_f32 v[16:17], v[28:29], v[16:17] neg_lo:[0,1] neg_hi:[0,1]
	v_pk_fma_f32 v[2:3], v[2:3], v[22:23], v[4:5] op_sel_hi:[1,0,1] neg_lo:[1,0,0] neg_hi:[1,0,0]
	v_pk_fma_f32 v[4:5], v[18:19], v[32:33], v[12:13] op_sel_hi:[1,0,1] neg_lo:[1,0,0] neg_hi:[1,0,0]
	v_pk_add_f32 v[10:11], v[14:15], v[10:11] neg_lo:[0,1] neg_hi:[0,1]
	s_delay_alu instid0(VALU_DEP_4)
	v_pk_add_f32 v[14:15], v[16:17], v[20:21] neg_lo:[0,1] neg_hi:[0,1]
	ds_store_b64 v6, v[10:11]
	ds_store_b64 v8, v[14:15] offset:512
	ds_store_b64 v8, v[2:3]
	ds_store_b64 v7, v[4:5]
	s_wait_dscnt 0x0
	; wave barrier
	ds_load_2addr_b64 v[2:5], v38 offset1:16
	ds_load_2addr_b64 v[10:13], v9 offset1:16
	ds_load_b64 v[22:23], v8
	ds_load_b64 v[24:25], v7
	s_wait_dscnt 0x2
	v_mul_f32_e32 v31, v13, v13
	s_delay_alu instid0(VALU_DEP_1) | instskip(NEXT) | instid1(VALU_DEP_1)
	v_dual_mul_f32 v30, v5, v5 :: v_dual_fmac_f32 v31, v12, v12
	v_fmac_f32_e32 v30, v4, v4
	s_delay_alu instid0(VALU_DEP_2) | instskip(NEXT) | instid1(VALU_DEP_2)
	v_div_scale_f32 v33, null, v31, v31, 1.0
	v_div_scale_f32 v32, null, v30, v30, 1.0
	v_div_scale_f32 v36, vcc_lo, 1.0, v30, 1.0
	s_delay_alu instid0(VALU_DEP_3) | instskip(NEXT) | instid1(VALU_DEP_2)
	v_rcp_f32_e32 v35, v33
	v_rcp_f32_e32 v34, v32
	v_div_scale_f32 v37, s0, 1.0, v31, 1.0
	s_delay_alu instid0(TRANS32_DEP_2) | instskip(NEXT) | instid1(TRANS32_DEP_1)
	v_fma_f32 v15, -v33, v35, 1.0
	v_fma_f32 v14, -v32, v34, 1.0
	s_delay_alu instid0(VALU_DEP_1) | instskip(SKIP_4) | instid1(VALU_DEP_1)
	v_dual_fmac_f32 v35, v15, v35 :: v_dual_fmac_f32 v34, v14, v34
	ds_load_2addr_b64 v[14:17], v38 offset0:32 offset1:64
	ds_load_b64 v[26:27], v6
	ds_load_b64 v[28:29], v8 offset:512
	v_dual_mul_f32 v40, v37, v35 :: v_dual_mul_f32 v39, v36, v34
	v_dual_fma_f32 v38, -v33, v40, v37 :: v_dual_fma_f32 v18, -v32, v39, v36
	s_delay_alu instid0(VALU_DEP_1) | instskip(NEXT) | instid1(VALU_DEP_2)
	v_fmac_f32_e32 v40, v38, v35
	v_fmac_f32_e32 v39, v18, v34
	ds_load_2addr_b64 v[18:21], v9 offset0:32 offset1:64
	s_wait_dscnt 0x5
	v_dual_mul_f32 v9, v5, v23 :: v_dual_mul_f32 v5, v5, -v22
	s_wait_dscnt 0x0
	v_dual_fma_f32 v32, -v32, v39, v36 :: v_dual_mul_f32 v36, v13, -v24
	s_delay_alu instid0(VALU_DEP_2) | instskip(NEXT) | instid1(VALU_DEP_2)
	v_dual_mul_f32 v13, v13, v25 :: v_dual_fmac_f32 v5, v23, v4
	; wave barrier
	v_div_fmas_f32 v32, v32, v34, v39
	s_mov_b32 vcc_lo, s0
	s_delay_alu instid0(VALU_DEP_2) | instskip(NEXT) | instid1(VALU_DEP_2)
	v_dual_fmac_f32 v36, v25, v12 :: v_dual_fmac_f32 v13, v24, v12
	v_div_fixup_f32 v23, v32, v30, 1.0
	s_delay_alu instid0(VALU_DEP_1) | instskip(NEXT) | instid1(VALU_DEP_1)
	v_dual_fmac_f32 v9, v22, v4 :: v_dual_mul_f32 v4, v5, v23
	v_dual_fma_f32 v33, -v33, v40, v37 :: v_dual_mul_f32 v22, v23, v9
	s_delay_alu instid0(VALU_DEP_2) | instskip(NEXT) | instid1(VALU_DEP_2)
	v_pk_mul_f32 v[24:25], v[4:5], v[14:15] op_sel:[0,1] op_sel_hi:[0,0] neg_lo:[0,1]
	v_div_fmas_f32 v33, v33, v35, v40
	v_cmp_gt_u32_e32 vcc_lo, 8, v0
	s_delay_alu instid0(VALU_DEP_3) | instskip(NEXT) | instid1(VALU_DEP_3)
	v_pk_fma_f32 v[14:15], v[14:15], v[22:23], v[24:25] op_sel_hi:[1,0,1]
	v_div_fixup_f32 v32, v33, v31, 1.0
	v_pk_mul_f32 v[30:31], v[4:5], v[16:17] op_sel:[0,1] op_sel_hi:[0,0] neg_lo:[0,1]
	v_pk_mul_f32 v[4:5], v[4:5], v[2:3] op_sel:[0,1] op_sel_hi:[0,0] neg_hi:[0,1]
	s_delay_alu instid0(VALU_DEP_4) | instskip(NEXT) | instid1(VALU_DEP_4)
	v_pk_add_f32 v[14:15], v[26:27], v[14:15] neg_lo:[0,1] neg_hi:[0,1]
	v_mul_f32_e32 v12, v36, v32
	v_mul_f32_e32 v32, v32, v13
	v_pk_fma_f32 v[16:17], v[16:17], v[22:23], v[30:31] op_sel_hi:[1,0,1]
	v_pk_fma_f32 v[2:3], v[2:3], v[22:23], v[4:5] op_sel_hi:[1,0,1] neg_lo:[1,0,0] neg_hi:[1,0,0]
	s_delay_alu instid0(VALU_DEP_4) | instskip(SKIP_1) | instid1(VALU_DEP_4)
	v_pk_mul_f32 v[34:35], v[12:13], v[10:11] op_sel:[0,1] op_sel_hi:[0,0] neg_lo:[0,1]
	v_pk_mul_f32 v[36:37], v[12:13], v[20:21] op_sel:[0,1] op_sel_hi:[0,0] neg_lo:[0,1]
	v_pk_add_f32 v[16:17], v[28:29], v[16:17] neg_lo:[0,1] neg_hi:[0,1]
	v_pk_mul_f32 v[12:13], v[12:13], v[18:19] op_sel:[0,1] op_sel_hi:[0,0] neg_hi:[0,1]
	s_delay_alu instid0(VALU_DEP_4) | instskip(NEXT) | instid1(VALU_DEP_4)
	v_pk_fma_f32 v[10:11], v[10:11], v[32:33], v[34:35] op_sel_hi:[1,0,1]
	v_pk_fma_f32 v[20:21], v[20:21], v[32:33], v[36:37] op_sel_hi:[1,0,1]
	s_delay_alu instid0(VALU_DEP_3) | instskip(NEXT) | instid1(VALU_DEP_3)
	v_pk_fma_f32 v[4:5], v[18:19], v[32:33], v[12:13] op_sel_hi:[1,0,1] neg_lo:[1,0,0] neg_hi:[1,0,0]
	v_pk_add_f32 v[10:11], v[14:15], v[10:11] neg_lo:[0,1] neg_hi:[0,1]
	s_delay_alu instid0(VALU_DEP_3)
	v_pk_add_f32 v[14:15], v[16:17], v[20:21] neg_lo:[0,1] neg_hi:[0,1]
	ds_store_b64 v6, v[10:11]
	ds_store_b64 v8, v[14:15] offset:512
	ds_store_b64 v8, v[2:3]
	ds_store_b64 v7, v[4:5]
	s_wait_dscnt 0x0
	; wave barrier
	s_and_saveexec_b32 s0, vcc_lo
	s_cbranch_execz .LBB53_14
; %bb.9:
	v_or_b32_e32 v4, 8, v0
	v_or_b32_e32 v5, 0x200, v8
	s_mov_b32 s1, exec_lo
                                        ; implicit-def: $vgpr2_vgpr3
	s_delay_alu instid0(VALU_DEP_2)
	v_cmpx_le_i32_e64 s3, v4
	s_xor_b32 s1, exec_lo, s1
	s_cbranch_execz .LBB53_11
; %bb.10:
	ds_load_b64 v[2:3], v6
	s_wait_dscnt 0x0
	v_mul_f32_e32 v9, v3, v3
	s_delay_alu instid0(VALU_DEP_1) | instskip(NEXT) | instid1(VALU_DEP_1)
	v_fmac_f32_e32 v9, v2, v2
	v_div_scale_f32 v6, null, v9, v9, 1.0
	s_delay_alu instid0(VALU_DEP_1) | instskip(SKIP_1) | instid1(TRANS32_DEP_1)
	v_rcp_f32_e32 v7, v6
	v_nop
	v_fma_f32 v4, -v6, v7, 1.0
	s_delay_alu instid0(VALU_DEP_1) | instskip(SKIP_3) | instid1(VALU_DEP_1)
	v_fmac_f32_e32 v7, v4, v7
	v_div_scale_f32 v10, vcc_lo, 1.0, v9, 1.0
	ds_load_b64 v[4:5], v5
	v_mul_f32_e32 v11, v10, v7
	v_fma_f32 v12, -v6, v11, v10
	s_delay_alu instid0(VALU_DEP_1) | instskip(NEXT) | instid1(VALU_DEP_1)
	v_fmac_f32_e32 v11, v12, v7
	v_fma_f32 v6, -v6, v11, v10
	s_delay_alu instid0(VALU_DEP_1) | instskip(SKIP_2) | instid1(VALU_DEP_2)
	v_div_fmas_f32 v10, v6, v7, v11
	s_wait_dscnt 0x0
	v_pk_mul_f32 v[6:7], v[2:3], v[4:5] op_sel:[1,1] op_sel_hi:[1,0] neg_hi:[0,1]
	v_div_fixup_f32 v10, v10, v9, 1.0
	s_delay_alu instid0(VALU_DEP_2) | instskip(NEXT) | instid1(VALU_DEP_1)
	v_pk_fma_f32 v[2:3], v[4:5], v[2:3], v[6:7] op_sel_hi:[1,0,1]
                                        ; implicit-def: $vgpr6
                                        ; implicit-def: $vgpr7
                                        ; implicit-def: $vgpr5
                                        ; implicit-def: $vgpr4
	v_pk_mul_f32 v[2:3], v[10:11], v[2:3] op_sel_hi:[0,1]
.LBB53_11:
	s_and_not1_saveexec_b32 s1, s1
	s_cbranch_execz .LBB53_13
; %bb.12:
	ds_load_2addr_b64 v[10:13], v6 offset1:8
	ds_load_b64 v[2:3], v7
	ds_load_b32 v0, v5
	ds_load_b64 v[6:7], v5
	ds_load_b64 v[14:15], v8 offset:64
	s_wait_dscnt 0x4
	v_pk_mul_f32 v[16:17], v[10:11], v[12:13] op_sel:[1,1] op_sel_hi:[1,0] neg_lo:[0,1]
	s_wait_dscnt 0x0
	v_pk_mul_f32 v[18:19], v[14:15], v[2:3] op_sel:[1,1] op_sel_hi:[1,0] neg_lo:[0,1]
	s_delay_alu instid0(VALU_DEP_2) | instskip(SKIP_1) | instid1(VALU_DEP_3)
	v_pk_fma_f32 v[16:17], v[12:13], v[10:11], v[16:17] op_sel_hi:[1,0,1]
	v_pk_mul_f32 v[28:29], v[14:15], v[6:7] op_sel:[1,1] op_sel_hi:[1,0] neg_lo:[0,1]
	v_pk_fma_f32 v[18:19], v[2:3], v[14:15], v[18:19] op_sel_hi:[1,0,1]
	s_delay_alu instid0(VALU_DEP_2) | instskip(NEXT) | instid1(VALU_DEP_2)
	v_pk_fma_f32 v[6:7], v[6:7], v[14:15], v[28:29] op_sel_hi:[1,0,1]
	v_pk_add_f32 v[16:17], v[16:17], v[18:19] neg_lo:[0,1] neg_hi:[0,1]
	ds_load_2addr_b32 v[18:19], v5 offset0:1 offset1:16
	ds_load_b32 v20, v5 offset:68
	ds_load_b64 v[22:23], v5 offset:64
	v_mul_f32_e32 v9, v17, v17
	s_delay_alu instid0(VALU_DEP_1) | instskip(NEXT) | instid1(VALU_DEP_1)
	v_fmac_f32_e32 v9, v16, v16
	v_div_scale_f32 v26, null, v9, v9, 1.0
	s_wait_dscnt 0x2
	v_pk_mul_f32 v[24:25], v[18:19], v[12:13] op_sel:[0,1] op_sel_hi:[0,0] neg_lo:[0,1]
	s_delay_alu instid0(VALU_DEP_2) | instskip(SKIP_1) | instid1(VALU_DEP_2)
	v_rcp_f32_e32 v30, v26
	v_mov_b32_e32 v18, v19
	v_pk_fma_f32 v[12:13], v[12:13], v[0:1], v[24:25] op_sel_hi:[1,0,1]
	v_fma_f32 v0, v16, 0, -v17
	s_delay_alu instid0(TRANS32_DEP_1) | instskip(NEXT) | instid1(VALU_DEP_1)
	v_fma_f32 v21, -v26, v30, 1.0
	v_fmac_f32_e32 v30, v21, v30
	v_div_scale_f32 v27, vcc_lo, 1.0, v9, 1.0
	s_delay_alu instid0(VALU_DEP_1) | instskip(NEXT) | instid1(VALU_DEP_1)
	v_mul_f32_e32 v5, v27, v30
	v_fma_f32 v21, -v26, v5, v27
	s_delay_alu instid0(VALU_DEP_1) | instskip(SKIP_2) | instid1(VALU_DEP_2)
	v_fmac_f32_e32 v5, v21, v30
	s_wait_dscnt 0x1
	v_pk_mul_f32 v[20:21], v[20:21], v[2:3] op_sel:[0,1] op_sel_hi:[0,0] neg_lo:[0,1]
	v_fma_f32 v19, -v26, v5, v27
	s_wait_dscnt 0x0
	v_pk_mul_f32 v[26:27], v[10:11], v[22:23] op_sel:[1,1] op_sel_hi:[1,0] neg_lo:[0,1]
	s_delay_alu instid0(VALU_DEP_2) | instskip(NEXT) | instid1(VALU_DEP_2)
	v_div_fmas_f32 v5, v19, v30, v5
	v_pk_fma_f32 v[10:11], v[22:23], v[10:11], v[26:27] op_sel_hi:[1,0,1]
	s_delay_alu instid0(VALU_DEP_2) | instskip(SKIP_1) | instid1(VALU_DEP_3)
	v_div_fixup_f32 v5, v5, v9, 1.0
	v_fma_f32 v9, 0, v17, v16
	v_pk_add_f32 v[6:7], v[10:11], v[6:7] neg_lo:[0,1] neg_hi:[0,1]
	s_delay_alu instid0(VALU_DEP_3) | instskip(SKIP_1) | instid1(VALU_DEP_4)
	v_mul_f32_e32 v0, v0, v5
	v_pk_fma_f32 v[2:3], v[2:3], v[18:19], v[20:21] op_sel_hi:[1,0,1]
	v_mul_f32_e32 v10, v9, v5
	s_delay_alu instid0(VALU_DEP_3) | instskip(NEXT) | instid1(VALU_DEP_3)
	v_pk_mul_f32 v[14:15], v[0:1], v[6:7] op_sel:[0,1] op_sel_hi:[0,0] neg_lo:[0,1]
	v_pk_add_f32 v[2:3], v[12:13], v[2:3] neg_lo:[0,1] neg_hi:[0,1]
	s_delay_alu instid0(VALU_DEP_1) | instskip(SKIP_1) | instid1(VALU_DEP_2)
	v_pk_mul_f32 v[12:13], v[0:1], v[2:3] op_sel:[0,1] op_sel_hi:[0,0] neg_lo:[0,1]
	v_mov_b32_e32 v0, v4
	v_pk_fma_f32 v[12:13], v[2:3], v[10:11], v[12:13] op_sel_hi:[1,0,1]
	v_pk_fma_f32 v[2:3], v[6:7], v[10:11], v[14:15] op_sel_hi:[1,0,1]
	ds_store_b64 v8, v[12:13] offset:384
.LBB53_13:
	s_or_b32 exec_lo, exec_lo, s1
	v_lshlrev_b32_e32 v0, 3, v0
	ds_store_b64 v0, v[2:3] offset:384
.LBB53_14:
	s_or_b32 exec_lo, exec_lo, s0
	s_wait_dscnt 0x0
	; wave barrier
	s_and_saveexec_b32 s0, s2
	s_cbranch_execz .LBB53_16
; %bb.15:
	ds_load_b64 v[2:3], v8 offset:384
	s_wait_dscnt 0x0
	s_wait_kmcnt 0x0
	global_store_b64 v1, v[2:3], s[4:5] scale_offset
.LBB53_16:
	s_endpgm
	.section	.rodata,"a",@progbits
	.p2align	6, 0x0
	.amdhsa_kernel _ZN9rocsparseL44gtsv_nopivot_strided_batch_pcr_shared_kernelILj16E21rocsparse_complex_numIfEEEviiiPKT0_S5_S5_PS3_
		.amdhsa_group_segment_fixed_size 640
		.amdhsa_private_segment_fixed_size 0
		.amdhsa_kernarg_size 48
		.amdhsa_user_sgpr_count 2
		.amdhsa_user_sgpr_dispatch_ptr 0
		.amdhsa_user_sgpr_queue_ptr 0
		.amdhsa_user_sgpr_kernarg_segment_ptr 1
		.amdhsa_user_sgpr_dispatch_id 0
		.amdhsa_user_sgpr_kernarg_preload_length 0
		.amdhsa_user_sgpr_kernarg_preload_offset 0
		.amdhsa_user_sgpr_private_segment_size 0
		.amdhsa_wavefront_size32 1
		.amdhsa_uses_dynamic_stack 0
		.amdhsa_enable_private_segment 0
		.amdhsa_system_sgpr_workgroup_id_x 1
		.amdhsa_system_sgpr_workgroup_id_y 0
		.amdhsa_system_sgpr_workgroup_id_z 0
		.amdhsa_system_sgpr_workgroup_info 0
		.amdhsa_system_vgpr_workitem_id 0
		.amdhsa_next_free_vgpr 43
		.amdhsa_next_free_sgpr 8
		.amdhsa_named_barrier_count 0
		.amdhsa_reserve_vcc 1
		.amdhsa_float_round_mode_32 0
		.amdhsa_float_round_mode_16_64 0
		.amdhsa_float_denorm_mode_32 3
		.amdhsa_float_denorm_mode_16_64 3
		.amdhsa_fp16_overflow 0
		.amdhsa_memory_ordered 1
		.amdhsa_forward_progress 1
		.amdhsa_inst_pref_size 21
		.amdhsa_round_robin_scheduling 0
		.amdhsa_exception_fp_ieee_invalid_op 0
		.amdhsa_exception_fp_denorm_src 0
		.amdhsa_exception_fp_ieee_div_zero 0
		.amdhsa_exception_fp_ieee_overflow 0
		.amdhsa_exception_fp_ieee_underflow 0
		.amdhsa_exception_fp_ieee_inexact 0
		.amdhsa_exception_int_div_zero 0
	.end_amdhsa_kernel
	.section	.text._ZN9rocsparseL44gtsv_nopivot_strided_batch_pcr_shared_kernelILj16E21rocsparse_complex_numIfEEEviiiPKT0_S5_S5_PS3_,"axG",@progbits,_ZN9rocsparseL44gtsv_nopivot_strided_batch_pcr_shared_kernelILj16E21rocsparse_complex_numIfEEEviiiPKT0_S5_S5_PS3_,comdat
.Lfunc_end53:
	.size	_ZN9rocsparseL44gtsv_nopivot_strided_batch_pcr_shared_kernelILj16E21rocsparse_complex_numIfEEEviiiPKT0_S5_S5_PS3_, .Lfunc_end53-_ZN9rocsparseL44gtsv_nopivot_strided_batch_pcr_shared_kernelILj16E21rocsparse_complex_numIfEEEviiiPKT0_S5_S5_PS3_
                                        ; -- End function
	.set _ZN9rocsparseL44gtsv_nopivot_strided_batch_pcr_shared_kernelILj16E21rocsparse_complex_numIfEEEviiiPKT0_S5_S5_PS3_.num_vgpr, 43
	.set _ZN9rocsparseL44gtsv_nopivot_strided_batch_pcr_shared_kernelILj16E21rocsparse_complex_numIfEEEviiiPKT0_S5_S5_PS3_.num_agpr, 0
	.set _ZN9rocsparseL44gtsv_nopivot_strided_batch_pcr_shared_kernelILj16E21rocsparse_complex_numIfEEEviiiPKT0_S5_S5_PS3_.numbered_sgpr, 8
	.set _ZN9rocsparseL44gtsv_nopivot_strided_batch_pcr_shared_kernelILj16E21rocsparse_complex_numIfEEEviiiPKT0_S5_S5_PS3_.num_named_barrier, 0
	.set _ZN9rocsparseL44gtsv_nopivot_strided_batch_pcr_shared_kernelILj16E21rocsparse_complex_numIfEEEviiiPKT0_S5_S5_PS3_.private_seg_size, 0
	.set _ZN9rocsparseL44gtsv_nopivot_strided_batch_pcr_shared_kernelILj16E21rocsparse_complex_numIfEEEviiiPKT0_S5_S5_PS3_.uses_vcc, 1
	.set _ZN9rocsparseL44gtsv_nopivot_strided_batch_pcr_shared_kernelILj16E21rocsparse_complex_numIfEEEviiiPKT0_S5_S5_PS3_.uses_flat_scratch, 0
	.set _ZN9rocsparseL44gtsv_nopivot_strided_batch_pcr_shared_kernelILj16E21rocsparse_complex_numIfEEEviiiPKT0_S5_S5_PS3_.has_dyn_sized_stack, 0
	.set _ZN9rocsparseL44gtsv_nopivot_strided_batch_pcr_shared_kernelILj16E21rocsparse_complex_numIfEEEviiiPKT0_S5_S5_PS3_.has_recursion, 0
	.set _ZN9rocsparseL44gtsv_nopivot_strided_batch_pcr_shared_kernelILj16E21rocsparse_complex_numIfEEEviiiPKT0_S5_S5_PS3_.has_indirect_call, 0
	.section	.AMDGPU.csdata,"",@progbits
; Kernel info:
; codeLenInByte = 2644
; TotalNumSgprs: 10
; NumVgprs: 43
; ScratchSize: 0
; MemoryBound: 0
; FloatMode: 240
; IeeeMode: 1
; LDSByteSize: 640 bytes/workgroup (compile time only)
; SGPRBlocks: 0
; VGPRBlocks: 2
; NumSGPRsForWavesPerEU: 10
; NumVGPRsForWavesPerEU: 43
; NamedBarCnt: 0
; Occupancy: 16
; WaveLimiterHint : 0
; COMPUTE_PGM_RSRC2:SCRATCH_EN: 0
; COMPUTE_PGM_RSRC2:USER_SGPR: 2
; COMPUTE_PGM_RSRC2:TRAP_HANDLER: 0
; COMPUTE_PGM_RSRC2:TGID_X_EN: 1
; COMPUTE_PGM_RSRC2:TGID_Y_EN: 0
; COMPUTE_PGM_RSRC2:TGID_Z_EN: 0
; COMPUTE_PGM_RSRC2:TIDIG_COMP_CNT: 0
	.section	.text._ZN9rocsparseL44gtsv_nopivot_strided_batch_pcr_shared_kernelILj32E21rocsparse_complex_numIfEEEviiiPKT0_S5_S5_PS3_,"axG",@progbits,_ZN9rocsparseL44gtsv_nopivot_strided_batch_pcr_shared_kernelILj32E21rocsparse_complex_numIfEEEviiiPKT0_S5_S5_PS3_,comdat
	.globl	_ZN9rocsparseL44gtsv_nopivot_strided_batch_pcr_shared_kernelILj32E21rocsparse_complex_numIfEEEviiiPKT0_S5_S5_PS3_ ; -- Begin function _ZN9rocsparseL44gtsv_nopivot_strided_batch_pcr_shared_kernelILj32E21rocsparse_complex_numIfEEEviiiPKT0_S5_S5_PS3_
	.p2align	8
	.type	_ZN9rocsparseL44gtsv_nopivot_strided_batch_pcr_shared_kernelILj32E21rocsparse_complex_numIfEEEviiiPKT0_S5_S5_PS3_,@function
_ZN9rocsparseL44gtsv_nopivot_strided_batch_pcr_shared_kernelILj32E21rocsparse_complex_numIfEEEviiiPKT0_S5_S5_PS3_: ; @_ZN9rocsparseL44gtsv_nopivot_strided_batch_pcr_shared_kernelILj32E21rocsparse_complex_numIfEEEviiiPKT0_S5_S5_PS3_
; %bb.0:
	s_clause 0x1
	s_load_b32 s2, s[0:1], 0x8
	s_load_b32 s3, s[0:1], 0x0
	s_bfe_u32 s4, ttmp6, 0x4000c
	s_and_b32 s5, ttmp6, 15
	s_add_co_i32 s4, s4, 1
	s_getreg_b32 s6, hwreg(HW_REG_IB_STS2, 6, 4)
	s_mul_i32 s4, ttmp9, s4
	v_dual_mov_b32 v2, 0 :: v_dual_mov_b32 v6, 0
	s_add_co_i32 s5, s5, s4
	s_cmp_eq_u32 s6, 0
	v_mov_b32_e32 v7, 0
	s_cselect_b32 s4, ttmp9, s5
	s_wait_kmcnt 0x0
	v_mad_u32 v1, s2, s4, v0
	v_cmp_gt_i32_e64 s2, s3, v0
	s_and_saveexec_b32 s4, s2
	s_cbranch_execz .LBB54_2
; %bb.1:
	s_load_b64 s[6:7], s[0:1], 0x10
	s_wait_kmcnt 0x0
	global_load_b64 v[6:7], v1, s[6:7] scale_offset
.LBB54_2:
	s_wait_xcnt 0x0
	s_or_b32 exec_lo, exec_lo, s4
	v_dual_lshlrev_b32 v8, 3, v0 :: v_dual_mov_b32 v4, 0
	v_mov_b32_e32 v5, 0
	s_wait_loadcnt 0x0
	ds_store_b64 v8, v[6:7]
	s_and_saveexec_b32 s4, s2
	s_cbranch_execz .LBB54_4
; %bb.3:
	s_load_b64 s[6:7], s[0:1], 0x18
	s_wait_kmcnt 0x0
	global_load_b64 v[4:5], v1, s[6:7] scale_offset
.LBB54_4:
	s_wait_xcnt 0x0
	s_or_b32 exec_lo, exec_lo, s4
	s_load_b64 s[4:5], s[0:1], 0x28
	v_mov_b32_e32 v3, 0
	s_wait_loadcnt 0x0
	ds_store_b64 v8, v[4:5] offset:256
	s_and_saveexec_b32 s6, s2
	s_cbranch_execz .LBB54_6
; %bb.5:
	s_wait_xcnt 0x0
	s_load_b64 s[0:1], s[0:1], 0x20
	s_wait_kmcnt 0x0
	global_load_b64 v[2:3], v1, s[0:1] scale_offset
.LBB54_6:
	s_wait_xcnt 0x0
	s_or_b32 exec_lo, exec_lo, s6
	v_or_b32_e32 v6, 0x100, v8
	v_or_b32_e32 v7, 0x200, v8
	v_dual_mov_b32 v4, 0 :: v_dual_mov_b32 v5, 0
	s_wait_loadcnt 0x0
	ds_store_b64 v8, v[2:3] offset:512
	s_and_saveexec_b32 s0, s2
	s_cbranch_execz .LBB54_8
; %bb.7:
	s_wait_kmcnt 0x0
	global_load_b64 v[4:5], v1, s[4:5] scale_offset
.LBB54_8:
	s_wait_xcnt 0x0
	s_or_b32 exec_lo, exec_lo, s0
	s_add_co_i32 s1, s3, -1
	v_sub_nc_u32_e64 v2, v0, 1 clamp
	v_add_min_i32_e64 v3, v0, 1, s1
	s_wait_loadcnt 0x0
	ds_store_b64 v8, v[4:5] offset:1024
	s_wait_dscnt 0x0
	; wave barrier
	v_dual_lshlrev_b32 v9, 3, v2 :: v_dual_lshlrev_b32 v18, 3, v3
	v_sub_nc_u32_e64 v40, v0, 2 clamp
	v_add_min_i32_e64 v42, v0, 2, s1
	ds_load_2addr_b64 v[2:5], v9 offset1:32
	ds_load_2addr_b64 v[10:13], v18 offset1:32
	ds_load_b64 v[22:23], v8
	ds_load_b64 v[24:25], v7
	ds_load_b64 v[26:27], v6
	ds_load_b64 v[28:29], v8 offset:1024
	s_wait_dscnt 0x4
	v_mul_f32_e32 v31, v13, v13
	s_delay_alu instid0(VALU_DEP_1) | instskip(NEXT) | instid1(VALU_DEP_1)
	v_dual_mul_f32 v30, v5, v5 :: v_dual_fmac_f32 v31, v12, v12
	v_fmac_f32_e32 v30, v4, v4
	s_delay_alu instid0(VALU_DEP_2) | instskip(NEXT) | instid1(VALU_DEP_2)
	v_div_scale_f32 v33, null, v31, v31, 1.0
	v_div_scale_f32 v32, null, v30, v30, 1.0
	v_div_scale_f32 v36, vcc_lo, 1.0, v30, 1.0
	s_delay_alu instid0(VALU_DEP_3) | instskip(NEXT) | instid1(VALU_DEP_2)
	v_rcp_f32_e32 v35, v33
	v_rcp_f32_e32 v34, v32
	v_div_scale_f32 v37, s0, 1.0, v31, 1.0
	s_delay_alu instid0(TRANS32_DEP_2) | instskip(NEXT) | instid1(TRANS32_DEP_1)
	v_fma_f32 v15, -v33, v35, 1.0
	v_fma_f32 v14, -v32, v34, 1.0
	s_delay_alu instid0(VALU_DEP_1) | instskip(SKIP_4) | instid1(VALU_DEP_2)
	v_dual_fmac_f32 v35, v15, v35 :: v_dual_fmac_f32 v34, v14, v34
	ds_load_2addr_stride64_b64 v[14:17], v9 offset0:1 offset1:2
	s_wait_dscnt 0x4
	v_dual_mul_f32 v9, v5, v23 :: v_dual_mul_f32 v5, v5, -v22
	v_dual_mul_f32 v39, v37, v35 :: v_dual_mul_f32 v38, v36, v34
	v_fmac_f32_e32 v5, v23, v4
	s_delay_alu instid0(VALU_DEP_2) | instskip(NEXT) | instid1(VALU_DEP_1)
	v_dual_fma_f32 v41, -v33, v39, v37 :: v_dual_fma_f32 v19, -v32, v38, v36
	v_dual_fmac_f32 v39, v41, v35 :: v_dual_fmac_f32 v38, v19, v34
	ds_load_2addr_stride64_b64 v[18:21], v18 offset0:1 offset1:2
	s_wait_dscnt 0x0
	; wave barrier
	v_sub_nc_u32_e64 v41, v0, 4 clamp
	v_dual_fma_f32 v32, -v32, v38, v36 :: v_dual_mul_f32 v36, v13, -v24
	v_mul_f32_e32 v13, v13, v25
	s_delay_alu instid0(VALU_DEP_2) | instskip(NEXT) | instid1(VALU_DEP_2)
	v_div_fmas_f32 v32, v32, v34, v38
	v_dual_fmac_f32 v36, v25, v12 :: v_dual_fmac_f32 v13, v24, v12
	v_fma_f32 v33, -v33, v39, v37
	s_mov_b32 vcc_lo, s0
	s_delay_alu instid0(VALU_DEP_3) | instskip(SKIP_1) | instid1(VALU_DEP_3)
	v_div_fixup_f32 v23, v32, v30, 1.0
	v_fmac_f32_e32 v9, v22, v4
	v_div_fmas_f32 v33, v33, v35, v39
	s_delay_alu instid0(VALU_DEP_2) | instskip(SKIP_1) | instid1(VALU_DEP_3)
	v_dual_mul_f32 v4, v5, v23 :: v_dual_mul_f32 v22, v23, v9
	v_lshlrev_b32_e32 v9, 3, v42
	v_div_fixup_f32 v32, v33, v31, 1.0
	v_lshlrev_b32_e32 v33, 3, v40
	s_delay_alu instid0(VALU_DEP_4)
	v_pk_mul_f32 v[24:25], v[4:5], v[14:15] op_sel:[0,1] op_sel_hi:[0,0] neg_lo:[0,1]
	v_pk_mul_f32 v[30:31], v[4:5], v[16:17] op_sel:[0,1] op_sel_hi:[0,0] neg_lo:[0,1]
	v_pk_mul_f32 v[4:5], v[4:5], v[2:3] op_sel:[0,1] op_sel_hi:[0,0] neg_hi:[0,1]
	v_mul_f32_e32 v12, v36, v32
	v_mul_f32_e32 v32, v32, v13
	v_pk_fma_f32 v[14:15], v[14:15], v[22:23], v[24:25] op_sel_hi:[1,0,1]
	v_pk_fma_f32 v[16:17], v[16:17], v[22:23], v[30:31] op_sel_hi:[1,0,1]
	v_pk_fma_f32 v[2:3], v[2:3], v[22:23], v[4:5] op_sel_hi:[1,0,1] neg_lo:[1,0,0] neg_hi:[1,0,0]
	v_pk_mul_f32 v[34:35], v[12:13], v[10:11] op_sel:[0,1] op_sel_hi:[0,0] neg_lo:[0,1]
	v_pk_mul_f32 v[36:37], v[12:13], v[20:21] op_sel:[0,1] op_sel_hi:[0,0] neg_lo:[0,1]
	v_pk_add_f32 v[14:15], v[26:27], v[14:15] neg_lo:[0,1] neg_hi:[0,1]
	v_pk_add_f32 v[16:17], v[28:29], v[16:17] neg_lo:[0,1] neg_hi:[0,1]
	v_pk_mul_f32 v[12:13], v[12:13], v[18:19] op_sel:[0,1] op_sel_hi:[0,0] neg_hi:[0,1]
	v_pk_fma_f32 v[10:11], v[10:11], v[32:33], v[34:35] op_sel_hi:[1,0,1]
	v_pk_fma_f32 v[20:21], v[20:21], v[32:33], v[36:37] op_sel_hi:[1,0,1]
	v_add_min_i32_e64 v42, v0, 4, s1
	s_delay_alu instid0(VALU_DEP_4) | instskip(NEXT) | instid1(VALU_DEP_4)
	v_pk_fma_f32 v[4:5], v[18:19], v[32:33], v[12:13] op_sel_hi:[1,0,1] neg_lo:[1,0,0] neg_hi:[1,0,0]
	v_pk_add_f32 v[10:11], v[14:15], v[10:11] neg_lo:[0,1] neg_hi:[0,1]
	s_delay_alu instid0(VALU_DEP_4)
	v_pk_add_f32 v[14:15], v[16:17], v[20:21] neg_lo:[0,1] neg_hi:[0,1]
	ds_store_b64 v6, v[10:11]
	ds_store_b64 v8, v[14:15] offset:1024
	ds_store_b64 v8, v[2:3]
	ds_store_b64 v7, v[4:5]
	s_wait_dscnt 0x0
	; wave barrier
	ds_load_2addr_b64 v[2:5], v33 offset1:32
	ds_load_2addr_b64 v[10:13], v9 offset1:32
	ds_load_b64 v[22:23], v8
	ds_load_b64 v[24:25], v7
	s_wait_dscnt 0x2
	v_mul_f32_e32 v31, v13, v13
	s_delay_alu instid0(VALU_DEP_1) | instskip(NEXT) | instid1(VALU_DEP_1)
	v_dual_mul_f32 v30, v5, v5 :: v_dual_fmac_f32 v31, v12, v12
	v_fmac_f32_e32 v30, v4, v4
	s_delay_alu instid0(VALU_DEP_2) | instskip(NEXT) | instid1(VALU_DEP_2)
	v_div_scale_f32 v34, null, v31, v31, 1.0
	v_div_scale_f32 v32, null, v30, v30, 1.0
	v_div_scale_f32 v37, vcc_lo, 1.0, v30, 1.0
	s_delay_alu instid0(VALU_DEP_3) | instskip(NEXT) | instid1(VALU_DEP_2)
	v_rcp_f32_e32 v36, v34
	v_rcp_f32_e32 v35, v32
	v_div_scale_f32 v38, s0, 1.0, v31, 1.0
	s_delay_alu instid0(TRANS32_DEP_2) | instskip(NEXT) | instid1(TRANS32_DEP_1)
	v_fma_f32 v15, -v34, v36, 1.0
	v_fma_f32 v14, -v32, v35, 1.0
	s_delay_alu instid0(VALU_DEP_1) | instskip(SKIP_4) | instid1(VALU_DEP_1)
	v_dual_fmac_f32 v36, v15, v36 :: v_dual_fmac_f32 v35, v14, v35
	ds_load_2addr_stride64_b64 v[14:17], v33 offset0:1 offset1:2
	ds_load_b64 v[26:27], v6
	ds_load_b64 v[28:29], v8 offset:1024
	v_dual_mul_f32 v40, v38, v36 :: v_dual_mul_f32 v39, v37, v35
	v_dual_fma_f32 v33, -v34, v40, v38 :: v_dual_fma_f32 v18, -v32, v39, v37
	s_delay_alu instid0(VALU_DEP_1)
	v_dual_fmac_f32 v40, v33, v36 :: v_dual_fmac_f32 v39, v18, v35
	ds_load_2addr_stride64_b64 v[18:21], v9 offset0:1 offset1:2
	s_wait_dscnt 0x5
	v_dual_mul_f32 v9, v5, v23 :: v_dual_mul_f32 v5, v5, -v22
	s_wait_dscnt 0x4
	v_dual_mul_f32 v33, v13, -v24 :: v_dual_fma_f32 v32, -v32, v39, v37
	v_dual_fma_f32 v34, -v34, v40, v38 :: v_dual_mul_f32 v13, v13, v25
	s_delay_alu instid0(VALU_DEP_3) | instskip(NEXT) | instid1(VALU_DEP_3)
	v_dual_fmac_f32 v5, v23, v4 :: v_dual_lshlrev_b32 v38, 3, v41
	v_div_fmas_f32 v32, v32, v35, v39
	s_mov_b32 vcc_lo, s0
	s_delay_alu instid0(VALU_DEP_3) | instskip(SKIP_4) | instid1(VALU_DEP_3)
	v_fmac_f32_e32 v13, v24, v12
	v_div_fmas_f32 v34, v34, v36, v40
	s_wait_dscnt 0x0
	v_div_fixup_f32 v23, v32, v30, 1.0
	v_fmac_f32_e32 v9, v22, v4
	; wave barrier
	v_div_fixup_f32 v32, v34, v31, 1.0
	v_sub_nc_u32_e64 v41, v0, 8 clamp
	s_delay_alu instid0(VALU_DEP_4) | instskip(NEXT) | instid1(VALU_DEP_4)
	v_mul_f32_e32 v4, v5, v23
	v_dual_fmac_f32 v33, v25, v12 :: v_dual_mul_f32 v22, v23, v9
	v_lshlrev_b32_e32 v9, 3, v42
	v_add_min_i32_e64 v42, v0, 8, s1
	s_delay_alu instid0(VALU_DEP_4) | instskip(NEXT) | instid1(VALU_DEP_4)
	v_pk_mul_f32 v[24:25], v[4:5], v[14:15] op_sel:[0,1] op_sel_hi:[0,0] neg_lo:[0,1]
	v_dual_mul_f32 v12, v33, v32 :: v_dual_mul_f32 v32, v32, v13
	v_pk_mul_f32 v[30:31], v[4:5], v[16:17] op_sel:[0,1] op_sel_hi:[0,0] neg_lo:[0,1]
	v_pk_mul_f32 v[4:5], v[4:5], v[2:3] op_sel:[0,1] op_sel_hi:[0,0] neg_hi:[0,1]
	s_delay_alu instid0(VALU_DEP_4) | instskip(NEXT) | instid1(VALU_DEP_4)
	v_pk_fma_f32 v[14:15], v[14:15], v[22:23], v[24:25] op_sel_hi:[1,0,1]
	v_pk_mul_f32 v[34:35], v[12:13], v[10:11] op_sel:[0,1] op_sel_hi:[0,0] neg_lo:[0,1]
	v_pk_mul_f32 v[36:37], v[12:13], v[20:21] op_sel:[0,1] op_sel_hi:[0,0] neg_lo:[0,1]
	v_pk_fma_f32 v[16:17], v[16:17], v[22:23], v[30:31] op_sel_hi:[1,0,1]
	v_pk_mul_f32 v[12:13], v[12:13], v[18:19] op_sel:[0,1] op_sel_hi:[0,0] neg_hi:[0,1]
	v_pk_add_f32 v[14:15], v[26:27], v[14:15] neg_lo:[0,1] neg_hi:[0,1]
	v_pk_fma_f32 v[10:11], v[10:11], v[32:33], v[34:35] op_sel_hi:[1,0,1]
	v_pk_fma_f32 v[20:21], v[20:21], v[32:33], v[36:37] op_sel_hi:[1,0,1]
	v_pk_add_f32 v[16:17], v[28:29], v[16:17] neg_lo:[0,1] neg_hi:[0,1]
	v_pk_fma_f32 v[2:3], v[2:3], v[22:23], v[4:5] op_sel_hi:[1,0,1] neg_lo:[1,0,0] neg_hi:[1,0,0]
	v_pk_fma_f32 v[4:5], v[18:19], v[32:33], v[12:13] op_sel_hi:[1,0,1] neg_lo:[1,0,0] neg_hi:[1,0,0]
	v_pk_add_f32 v[10:11], v[14:15], v[10:11] neg_lo:[0,1] neg_hi:[0,1]
	s_delay_alu instid0(VALU_DEP_4)
	v_pk_add_f32 v[14:15], v[16:17], v[20:21] neg_lo:[0,1] neg_hi:[0,1]
	ds_store_b64 v6, v[10:11]
	ds_store_b64 v8, v[14:15] offset:1024
	ds_store_b64 v8, v[2:3]
	ds_store_b64 v7, v[4:5]
	s_wait_dscnt 0x0
	; wave barrier
	ds_load_2addr_b64 v[2:5], v38 offset1:32
	ds_load_2addr_b64 v[10:13], v9 offset1:32
	ds_load_b64 v[22:23], v8
	ds_load_b64 v[24:25], v7
	s_wait_dscnt 0x2
	v_mul_f32_e32 v31, v13, v13
	s_delay_alu instid0(VALU_DEP_1) | instskip(NEXT) | instid1(VALU_DEP_1)
	v_dual_mul_f32 v30, v5, v5 :: v_dual_fmac_f32 v31, v12, v12
	v_fmac_f32_e32 v30, v4, v4
	s_delay_alu instid0(VALU_DEP_2) | instskip(NEXT) | instid1(VALU_DEP_2)
	v_div_scale_f32 v33, null, v31, v31, 1.0
	v_div_scale_f32 v32, null, v30, v30, 1.0
	v_div_scale_f32 v36, vcc_lo, 1.0, v30, 1.0
	s_delay_alu instid0(VALU_DEP_3) | instskip(NEXT) | instid1(VALU_DEP_2)
	v_rcp_f32_e32 v35, v33
	v_rcp_f32_e32 v34, v32
	v_div_scale_f32 v37, s0, 1.0, v31, 1.0
	s_delay_alu instid0(TRANS32_DEP_2) | instskip(NEXT) | instid1(TRANS32_DEP_1)
	v_fma_f32 v15, -v33, v35, 1.0
	v_fma_f32 v14, -v32, v34, 1.0
	s_delay_alu instid0(VALU_DEP_1) | instskip(SKIP_4) | instid1(VALU_DEP_1)
	v_dual_fmac_f32 v35, v15, v35 :: v_dual_fmac_f32 v34, v14, v34
	ds_load_2addr_stride64_b64 v[14:17], v38 offset0:1 offset1:2
	ds_load_b64 v[26:27], v6
	ds_load_b64 v[28:29], v8 offset:1024
	v_dual_mul_f32 v40, v37, v35 :: v_dual_mul_f32 v39, v36, v34
	v_dual_fma_f32 v38, -v33, v40, v37 :: v_dual_fma_f32 v18, -v32, v39, v36
	s_delay_alu instid0(VALU_DEP_1) | instskip(NEXT) | instid1(VALU_DEP_2)
	v_fmac_f32_e32 v40, v38, v35
	v_fmac_f32_e32 v39, v18, v34
	ds_load_2addr_stride64_b64 v[18:21], v9 offset0:1 offset1:2
	s_wait_dscnt 0x5
	v_dual_mul_f32 v9, v5, v23 :: v_dual_mul_f32 v5, v5, -v22
	s_wait_dscnt 0x0
	v_dual_fma_f32 v32, -v32, v39, v36 :: v_dual_mul_f32 v36, v13, -v24
	s_delay_alu instid0(VALU_DEP_2) | instskip(NEXT) | instid1(VALU_DEP_2)
	v_dual_mul_f32 v13, v13, v25 :: v_dual_fmac_f32 v5, v23, v4
	; wave barrier
	v_div_fmas_f32 v32, v32, v34, v39
	s_mov_b32 vcc_lo, s0
	s_delay_alu instid0(VALU_DEP_2) | instskip(NEXT) | instid1(VALU_DEP_2)
	v_dual_fmac_f32 v36, v25, v12 :: v_dual_fmac_f32 v13, v24, v12
	v_div_fixup_f32 v23, v32, v30, 1.0
	s_delay_alu instid0(VALU_DEP_1) | instskip(NEXT) | instid1(VALU_DEP_1)
	v_dual_fmac_f32 v9, v22, v4 :: v_dual_mul_f32 v4, v5, v23
	v_dual_fma_f32 v33, -v33, v40, v37 :: v_dual_mul_f32 v22, v23, v9
	v_lshlrev_b32_e32 v9, 3, v42
	s_delay_alu instid0(VALU_DEP_3) | instskip(NEXT) | instid1(VALU_DEP_3)
	v_pk_mul_f32 v[24:25], v[4:5], v[14:15] op_sel:[0,1] op_sel_hi:[0,0] neg_lo:[0,1]
	v_div_fmas_f32 v33, v33, v35, v40
	s_delay_alu instid0(VALU_DEP_2) | instskip(NEXT) | instid1(VALU_DEP_2)
	v_pk_fma_f32 v[14:15], v[14:15], v[22:23], v[24:25] op_sel_hi:[1,0,1]
	v_div_fixup_f32 v32, v33, v31, 1.0
	v_lshlrev_b32_e32 v33, 3, v41
	v_pk_mul_f32 v[30:31], v[4:5], v[16:17] op_sel:[0,1] op_sel_hi:[0,0] neg_lo:[0,1]
	v_pk_mul_f32 v[4:5], v[4:5], v[2:3] op_sel:[0,1] op_sel_hi:[0,0] neg_hi:[0,1]
	v_pk_add_f32 v[14:15], v[26:27], v[14:15] neg_lo:[0,1] neg_hi:[0,1]
	v_mul_f32_e32 v12, v36, v32
	v_mul_f32_e32 v32, v32, v13
	v_pk_fma_f32 v[16:17], v[16:17], v[22:23], v[30:31] op_sel_hi:[1,0,1]
	v_pk_fma_f32 v[2:3], v[2:3], v[22:23], v[4:5] op_sel_hi:[1,0,1] neg_lo:[1,0,0] neg_hi:[1,0,0]
	s_delay_alu instid0(VALU_DEP_4) | instskip(SKIP_1) | instid1(VALU_DEP_4)
	v_pk_mul_f32 v[34:35], v[12:13], v[10:11] op_sel:[0,1] op_sel_hi:[0,0] neg_lo:[0,1]
	v_pk_mul_f32 v[36:37], v[12:13], v[20:21] op_sel:[0,1] op_sel_hi:[0,0] neg_lo:[0,1]
	v_pk_add_f32 v[16:17], v[28:29], v[16:17] neg_lo:[0,1] neg_hi:[0,1]
	v_pk_mul_f32 v[12:13], v[12:13], v[18:19] op_sel:[0,1] op_sel_hi:[0,0] neg_hi:[0,1]
	s_delay_alu instid0(VALU_DEP_4) | instskip(NEXT) | instid1(VALU_DEP_4)
	v_pk_fma_f32 v[10:11], v[10:11], v[32:33], v[34:35] op_sel_hi:[1,0,1]
	v_pk_fma_f32 v[20:21], v[20:21], v[32:33], v[36:37] op_sel_hi:[1,0,1]
	s_delay_alu instid0(VALU_DEP_3) | instskip(NEXT) | instid1(VALU_DEP_3)
	v_pk_fma_f32 v[4:5], v[18:19], v[32:33], v[12:13] op_sel_hi:[1,0,1] neg_lo:[1,0,0] neg_hi:[1,0,0]
	v_pk_add_f32 v[10:11], v[14:15], v[10:11] neg_lo:[0,1] neg_hi:[0,1]
	s_delay_alu instid0(VALU_DEP_3)
	v_pk_add_f32 v[14:15], v[16:17], v[20:21] neg_lo:[0,1] neg_hi:[0,1]
	ds_store_b64 v6, v[10:11]
	ds_store_b64 v8, v[14:15] offset:1024
	ds_store_b64 v8, v[2:3]
	ds_store_b64 v7, v[4:5]
	s_wait_dscnt 0x0
	; wave barrier
	ds_load_2addr_b64 v[2:5], v33 offset1:32
	ds_load_2addr_b64 v[10:13], v9 offset1:32
	ds_load_b64 v[22:23], v8
	ds_load_b64 v[24:25], v7
	s_wait_dscnt 0x3
	v_mul_f32_e32 v30, v5, v5
	s_wait_dscnt 0x2
	s_delay_alu instid0(VALU_DEP_1) | instskip(NEXT) | instid1(VALU_DEP_1)
	v_dual_mul_f32 v31, v13, v13 :: v_dual_fmac_f32 v30, v4, v4
	v_div_scale_f32 v32, null, v30, v30, 1.0
	s_delay_alu instid0(VALU_DEP_1) | instskip(SKIP_1) | instid1(TRANS32_DEP_1)
	v_rcp_f32_e32 v35, v32
	v_nop
	v_fma_f32 v14, -v32, v35, 1.0
	s_delay_alu instid0(VALU_DEP_1) | instskip(SKIP_1) | instid1(VALU_DEP_1)
	v_fmac_f32_e32 v35, v14, v35
	v_div_scale_f32 v37, vcc_lo, 1.0, v30, 1.0
	v_dual_fmac_f32 v31, v12, v12 :: v_dual_mul_f32 v39, v37, v35
	s_delay_alu instid0(VALU_DEP_1) | instskip(SKIP_1) | instid1(VALU_DEP_3)
	v_div_scale_f32 v34, null, v31, v31, 1.0
	v_div_scale_f32 v38, s0, 1.0, v31, 1.0
	v_fma_f32 v18, -v32, v39, v37
	s_delay_alu instid0(VALU_DEP_3) | instskip(SKIP_1) | instid1(TRANS32_DEP_1)
	v_rcp_f32_e32 v36, v34
	v_nop
	v_fma_f32 v15, -v34, v36, 1.0
	s_delay_alu instid0(VALU_DEP_1)
	v_fmac_f32_e32 v36, v15, v36
	ds_load_2addr_stride64_b64 v[14:17], v33 offset0:1 offset1:2
	ds_load_b64 v[26:27], v6
	ds_load_b64 v[28:29], v8 offset:1024
	v_mul_f32_e32 v40, v38, v36
	v_fmac_f32_e32 v39, v18, v35
	ds_load_2addr_stride64_b64 v[18:21], v9 offset0:1 offset1:2
	s_wait_dscnt 0x5
	v_dual_mul_f32 v9, v5, v23 :: v_dual_mul_f32 v5, v5, -v22
	v_fma_f32 v33, -v34, v40, v38
	s_wait_dscnt 0x0
	; wave barrier
	s_delay_alu instid0(VALU_DEP_2) | instskip(NEXT) | instid1(VALU_DEP_3)
	v_fmac_f32_e32 v9, v22, v4
	v_fmac_f32_e32 v5, v23, v4
	s_delay_alu instid0(VALU_DEP_3) | instskip(SKIP_1) | instid1(VALU_DEP_2)
	v_dual_fmac_f32 v40, v33, v36 :: v_dual_fma_f32 v32, -v32, v39, v37
	v_dual_mul_f32 v33, v13, -v24 :: v_dual_mul_f32 v13, v13, v25
	v_fma_f32 v34, -v34, v40, v38
	s_delay_alu instid0(VALU_DEP_3) | instskip(SKIP_1) | instid1(VALU_DEP_3)
	v_div_fmas_f32 v32, v32, v35, v39
	s_mov_b32 vcc_lo, s0
	v_fmac_f32_e32 v13, v24, v12
	s_delay_alu instid0(VALU_DEP_3) | instskip(NEXT) | instid1(VALU_DEP_3)
	v_div_fmas_f32 v34, v34, v36, v40
	v_div_fixup_f32 v23, v32, v30, 1.0
	v_cmp_gt_u32_e32 vcc_lo, 16, v0
	s_delay_alu instid0(VALU_DEP_3) | instskip(NEXT) | instid1(VALU_DEP_3)
	v_div_fixup_f32 v32, v34, v31, 1.0
	v_dual_fmac_f32 v33, v25, v12 :: v_dual_mul_f32 v22, v23, v9
	v_mul_f32_e32 v4, v5, v23
	s_delay_alu instid0(VALU_DEP_2) | instskip(NEXT) | instid1(VALU_DEP_2)
	v_dual_mul_f32 v12, v33, v32 :: v_dual_mul_f32 v32, v32, v13
	v_pk_mul_f32 v[24:25], v[4:5], v[14:15] op_sel:[0,1] op_sel_hi:[0,0] neg_lo:[0,1]
	v_pk_mul_f32 v[30:31], v[4:5], v[16:17] op_sel:[0,1] op_sel_hi:[0,0] neg_lo:[0,1]
	v_pk_mul_f32 v[4:5], v[4:5], v[2:3] op_sel:[0,1] op_sel_hi:[0,0] neg_hi:[0,1]
	s_delay_alu instid0(VALU_DEP_4)
	v_pk_mul_f32 v[34:35], v[12:13], v[10:11] op_sel:[0,1] op_sel_hi:[0,0] neg_lo:[0,1]
	v_pk_mul_f32 v[36:37], v[12:13], v[20:21] op_sel:[0,1] op_sel_hi:[0,0] neg_lo:[0,1]
	v_pk_fma_f32 v[14:15], v[14:15], v[22:23], v[24:25] op_sel_hi:[1,0,1]
	v_pk_fma_f32 v[16:17], v[16:17], v[22:23], v[30:31] op_sel_hi:[1,0,1]
	v_pk_mul_f32 v[12:13], v[12:13], v[18:19] op_sel:[0,1] op_sel_hi:[0,0] neg_hi:[0,1]
	v_pk_fma_f32 v[10:11], v[10:11], v[32:33], v[34:35] op_sel_hi:[1,0,1]
	v_pk_fma_f32 v[20:21], v[20:21], v[32:33], v[36:37] op_sel_hi:[1,0,1]
	v_pk_add_f32 v[14:15], v[26:27], v[14:15] neg_lo:[0,1] neg_hi:[0,1]
	v_pk_add_f32 v[16:17], v[28:29], v[16:17] neg_lo:[0,1] neg_hi:[0,1]
	v_pk_fma_f32 v[2:3], v[2:3], v[22:23], v[4:5] op_sel_hi:[1,0,1] neg_lo:[1,0,0] neg_hi:[1,0,0]
	v_pk_fma_f32 v[4:5], v[18:19], v[32:33], v[12:13] op_sel_hi:[1,0,1] neg_lo:[1,0,0] neg_hi:[1,0,0]
	s_delay_alu instid0(VALU_DEP_4) | instskip(NEXT) | instid1(VALU_DEP_4)
	v_pk_add_f32 v[10:11], v[14:15], v[10:11] neg_lo:[0,1] neg_hi:[0,1]
	v_pk_add_f32 v[14:15], v[16:17], v[20:21] neg_lo:[0,1] neg_hi:[0,1]
	ds_store_b64 v6, v[10:11]
	ds_store_b64 v8, v[14:15] offset:1024
	ds_store_b64 v8, v[2:3]
	ds_store_b64 v7, v[4:5]
	s_wait_dscnt 0x0
	; wave barrier
	s_and_saveexec_b32 s0, vcc_lo
	s_cbranch_execz .LBB54_14
; %bb.9:
	v_or_b32_e32 v4, 16, v0
	v_or_b32_e32 v5, 0x400, v8
	s_mov_b32 s1, exec_lo
                                        ; implicit-def: $vgpr2_vgpr3
	s_delay_alu instid0(VALU_DEP_2)
	v_cmpx_le_i32_e64 s3, v4
	s_xor_b32 s1, exec_lo, s1
	s_cbranch_execz .LBB54_11
; %bb.10:
	ds_load_b64 v[2:3], v6
	s_wait_dscnt 0x0
	v_mul_f32_e32 v9, v3, v3
	s_delay_alu instid0(VALU_DEP_1) | instskip(NEXT) | instid1(VALU_DEP_1)
	v_fmac_f32_e32 v9, v2, v2
	v_div_scale_f32 v6, null, v9, v9, 1.0
	s_delay_alu instid0(VALU_DEP_1) | instskip(SKIP_1) | instid1(TRANS32_DEP_1)
	v_rcp_f32_e32 v7, v6
	v_nop
	v_fma_f32 v4, -v6, v7, 1.0
	s_delay_alu instid0(VALU_DEP_1) | instskip(SKIP_3) | instid1(VALU_DEP_1)
	v_fmac_f32_e32 v7, v4, v7
	v_div_scale_f32 v10, vcc_lo, 1.0, v9, 1.0
	ds_load_b64 v[4:5], v5
	v_mul_f32_e32 v11, v10, v7
	v_fma_f32 v12, -v6, v11, v10
	s_delay_alu instid0(VALU_DEP_1) | instskip(NEXT) | instid1(VALU_DEP_1)
	v_fmac_f32_e32 v11, v12, v7
	v_fma_f32 v6, -v6, v11, v10
	s_delay_alu instid0(VALU_DEP_1) | instskip(SKIP_2) | instid1(VALU_DEP_2)
	v_div_fmas_f32 v10, v6, v7, v11
	s_wait_dscnt 0x0
	v_pk_mul_f32 v[6:7], v[2:3], v[4:5] op_sel:[1,1] op_sel_hi:[1,0] neg_hi:[0,1]
	v_div_fixup_f32 v10, v10, v9, 1.0
	s_delay_alu instid0(VALU_DEP_2) | instskip(NEXT) | instid1(VALU_DEP_1)
	v_pk_fma_f32 v[2:3], v[4:5], v[2:3], v[6:7] op_sel_hi:[1,0,1]
                                        ; implicit-def: $vgpr6
                                        ; implicit-def: $vgpr7
                                        ; implicit-def: $vgpr5
                                        ; implicit-def: $vgpr4
	v_pk_mul_f32 v[2:3], v[10:11], v[2:3] op_sel_hi:[0,1]
.LBB54_11:
	s_and_not1_saveexec_b32 s1, s1
	s_cbranch_execz .LBB54_13
; %bb.12:
	ds_load_2addr_b64 v[10:13], v6 offset1:16
	ds_load_b64 v[2:3], v7
	ds_load_b32 v0, v5
	ds_load_b64 v[6:7], v5
	ds_load_b64 v[14:15], v8 offset:128
	s_wait_dscnt 0x4
	v_pk_mul_f32 v[16:17], v[10:11], v[12:13] op_sel:[1,1] op_sel_hi:[1,0] neg_lo:[0,1]
	s_wait_dscnt 0x0
	v_pk_mul_f32 v[18:19], v[14:15], v[2:3] op_sel:[1,1] op_sel_hi:[1,0] neg_lo:[0,1]
	s_delay_alu instid0(VALU_DEP_2) | instskip(SKIP_1) | instid1(VALU_DEP_3)
	v_pk_fma_f32 v[16:17], v[12:13], v[10:11], v[16:17] op_sel_hi:[1,0,1]
	v_pk_mul_f32 v[28:29], v[14:15], v[6:7] op_sel:[1,1] op_sel_hi:[1,0] neg_lo:[0,1]
	v_pk_fma_f32 v[18:19], v[2:3], v[14:15], v[18:19] op_sel_hi:[1,0,1]
	s_delay_alu instid0(VALU_DEP_2) | instskip(NEXT) | instid1(VALU_DEP_2)
	v_pk_fma_f32 v[6:7], v[6:7], v[14:15], v[28:29] op_sel_hi:[1,0,1]
	v_pk_add_f32 v[16:17], v[16:17], v[18:19] neg_lo:[0,1] neg_hi:[0,1]
	ds_load_2addr_b32 v[18:19], v5 offset0:1 offset1:32
	ds_load_b32 v20, v5 offset:132
	ds_load_b64 v[22:23], v5 offset:128
	v_mul_f32_e32 v9, v17, v17
	s_delay_alu instid0(VALU_DEP_1) | instskip(NEXT) | instid1(VALU_DEP_1)
	v_fmac_f32_e32 v9, v16, v16
	v_div_scale_f32 v26, null, v9, v9, 1.0
	s_wait_dscnt 0x2
	v_pk_mul_f32 v[24:25], v[18:19], v[12:13] op_sel:[0,1] op_sel_hi:[0,0] neg_lo:[0,1]
	s_delay_alu instid0(VALU_DEP_2) | instskip(SKIP_1) | instid1(VALU_DEP_2)
	v_rcp_f32_e32 v30, v26
	v_mov_b32_e32 v18, v19
	v_pk_fma_f32 v[12:13], v[12:13], v[0:1], v[24:25] op_sel_hi:[1,0,1]
	v_fma_f32 v0, v16, 0, -v17
	s_delay_alu instid0(TRANS32_DEP_1) | instskip(NEXT) | instid1(VALU_DEP_1)
	v_fma_f32 v21, -v26, v30, 1.0
	v_fmac_f32_e32 v30, v21, v30
	v_div_scale_f32 v27, vcc_lo, 1.0, v9, 1.0
	s_delay_alu instid0(VALU_DEP_1) | instskip(NEXT) | instid1(VALU_DEP_1)
	v_mul_f32_e32 v5, v27, v30
	v_fma_f32 v21, -v26, v5, v27
	s_delay_alu instid0(VALU_DEP_1) | instskip(SKIP_2) | instid1(VALU_DEP_2)
	v_fmac_f32_e32 v5, v21, v30
	s_wait_dscnt 0x1
	v_pk_mul_f32 v[20:21], v[20:21], v[2:3] op_sel:[0,1] op_sel_hi:[0,0] neg_lo:[0,1]
	v_fma_f32 v19, -v26, v5, v27
	s_wait_dscnt 0x0
	v_pk_mul_f32 v[26:27], v[10:11], v[22:23] op_sel:[1,1] op_sel_hi:[1,0] neg_lo:[0,1]
	s_delay_alu instid0(VALU_DEP_2) | instskip(NEXT) | instid1(VALU_DEP_2)
	v_div_fmas_f32 v5, v19, v30, v5
	v_pk_fma_f32 v[10:11], v[22:23], v[10:11], v[26:27] op_sel_hi:[1,0,1]
	s_delay_alu instid0(VALU_DEP_2) | instskip(SKIP_1) | instid1(VALU_DEP_3)
	v_div_fixup_f32 v5, v5, v9, 1.0
	v_fma_f32 v9, 0, v17, v16
	v_pk_add_f32 v[6:7], v[10:11], v[6:7] neg_lo:[0,1] neg_hi:[0,1]
	s_delay_alu instid0(VALU_DEP_3) | instskip(SKIP_1) | instid1(VALU_DEP_4)
	v_mul_f32_e32 v0, v0, v5
	v_pk_fma_f32 v[2:3], v[2:3], v[18:19], v[20:21] op_sel_hi:[1,0,1]
	v_mul_f32_e32 v10, v9, v5
	s_delay_alu instid0(VALU_DEP_3) | instskip(NEXT) | instid1(VALU_DEP_3)
	v_pk_mul_f32 v[14:15], v[0:1], v[6:7] op_sel:[0,1] op_sel_hi:[0,0] neg_lo:[0,1]
	v_pk_add_f32 v[2:3], v[12:13], v[2:3] neg_lo:[0,1] neg_hi:[0,1]
	s_delay_alu instid0(VALU_DEP_1) | instskip(SKIP_1) | instid1(VALU_DEP_2)
	v_pk_mul_f32 v[12:13], v[0:1], v[2:3] op_sel:[0,1] op_sel_hi:[0,0] neg_lo:[0,1]
	v_mov_b32_e32 v0, v4
	v_pk_fma_f32 v[12:13], v[2:3], v[10:11], v[12:13] op_sel_hi:[1,0,1]
	v_pk_fma_f32 v[2:3], v[6:7], v[10:11], v[14:15] op_sel_hi:[1,0,1]
	ds_store_b64 v8, v[12:13] offset:768
.LBB54_13:
	s_or_b32 exec_lo, exec_lo, s1
	v_lshlrev_b32_e32 v0, 3, v0
	ds_store_b64 v0, v[2:3] offset:768
.LBB54_14:
	s_or_b32 exec_lo, exec_lo, s0
	s_wait_dscnt 0x0
	; wave barrier
	s_and_saveexec_b32 s0, s2
	s_cbranch_execz .LBB54_16
; %bb.15:
	ds_load_b64 v[2:3], v8 offset:768
	s_wait_dscnt 0x0
	s_wait_kmcnt 0x0
	global_store_b64 v1, v[2:3], s[4:5] scale_offset
.LBB54_16:
	s_endpgm
	.section	.rodata,"a",@progbits
	.p2align	6, 0x0
	.amdhsa_kernel _ZN9rocsparseL44gtsv_nopivot_strided_batch_pcr_shared_kernelILj32E21rocsparse_complex_numIfEEEviiiPKT0_S5_S5_PS3_
		.amdhsa_group_segment_fixed_size 1280
		.amdhsa_private_segment_fixed_size 0
		.amdhsa_kernarg_size 48
		.amdhsa_user_sgpr_count 2
		.amdhsa_user_sgpr_dispatch_ptr 0
		.amdhsa_user_sgpr_queue_ptr 0
		.amdhsa_user_sgpr_kernarg_segment_ptr 1
		.amdhsa_user_sgpr_dispatch_id 0
		.amdhsa_user_sgpr_kernarg_preload_length 0
		.amdhsa_user_sgpr_kernarg_preload_offset 0
		.amdhsa_user_sgpr_private_segment_size 0
		.amdhsa_wavefront_size32 1
		.amdhsa_uses_dynamic_stack 0
		.amdhsa_enable_private_segment 0
		.amdhsa_system_sgpr_workgroup_id_x 1
		.amdhsa_system_sgpr_workgroup_id_y 0
		.amdhsa_system_sgpr_workgroup_id_z 0
		.amdhsa_system_sgpr_workgroup_info 0
		.amdhsa_system_vgpr_workitem_id 0
		.amdhsa_next_free_vgpr 43
		.amdhsa_next_free_sgpr 8
		.amdhsa_named_barrier_count 0
		.amdhsa_reserve_vcc 1
		.amdhsa_float_round_mode_32 0
		.amdhsa_float_round_mode_16_64 0
		.amdhsa_float_denorm_mode_32 3
		.amdhsa_float_denorm_mode_16_64 3
		.amdhsa_fp16_overflow 0
		.amdhsa_memory_ordered 1
		.amdhsa_forward_progress 1
		.amdhsa_inst_pref_size 25
		.amdhsa_round_robin_scheduling 0
		.amdhsa_exception_fp_ieee_invalid_op 0
		.amdhsa_exception_fp_denorm_src 0
		.amdhsa_exception_fp_ieee_div_zero 0
		.amdhsa_exception_fp_ieee_overflow 0
		.amdhsa_exception_fp_ieee_underflow 0
		.amdhsa_exception_fp_ieee_inexact 0
		.amdhsa_exception_int_div_zero 0
	.end_amdhsa_kernel
	.section	.text._ZN9rocsparseL44gtsv_nopivot_strided_batch_pcr_shared_kernelILj32E21rocsparse_complex_numIfEEEviiiPKT0_S5_S5_PS3_,"axG",@progbits,_ZN9rocsparseL44gtsv_nopivot_strided_batch_pcr_shared_kernelILj32E21rocsparse_complex_numIfEEEviiiPKT0_S5_S5_PS3_,comdat
.Lfunc_end54:
	.size	_ZN9rocsparseL44gtsv_nopivot_strided_batch_pcr_shared_kernelILj32E21rocsparse_complex_numIfEEEviiiPKT0_S5_S5_PS3_, .Lfunc_end54-_ZN9rocsparseL44gtsv_nopivot_strided_batch_pcr_shared_kernelILj32E21rocsparse_complex_numIfEEEviiiPKT0_S5_S5_PS3_
                                        ; -- End function
	.set _ZN9rocsparseL44gtsv_nopivot_strided_batch_pcr_shared_kernelILj32E21rocsparse_complex_numIfEEEviiiPKT0_S5_S5_PS3_.num_vgpr, 43
	.set _ZN9rocsparseL44gtsv_nopivot_strided_batch_pcr_shared_kernelILj32E21rocsparse_complex_numIfEEEviiiPKT0_S5_S5_PS3_.num_agpr, 0
	.set _ZN9rocsparseL44gtsv_nopivot_strided_batch_pcr_shared_kernelILj32E21rocsparse_complex_numIfEEEviiiPKT0_S5_S5_PS3_.numbered_sgpr, 8
	.set _ZN9rocsparseL44gtsv_nopivot_strided_batch_pcr_shared_kernelILj32E21rocsparse_complex_numIfEEEviiiPKT0_S5_S5_PS3_.num_named_barrier, 0
	.set _ZN9rocsparseL44gtsv_nopivot_strided_batch_pcr_shared_kernelILj32E21rocsparse_complex_numIfEEEviiiPKT0_S5_S5_PS3_.private_seg_size, 0
	.set _ZN9rocsparseL44gtsv_nopivot_strided_batch_pcr_shared_kernelILj32E21rocsparse_complex_numIfEEEviiiPKT0_S5_S5_PS3_.uses_vcc, 1
	.set _ZN9rocsparseL44gtsv_nopivot_strided_batch_pcr_shared_kernelILj32E21rocsparse_complex_numIfEEEviiiPKT0_S5_S5_PS3_.uses_flat_scratch, 0
	.set _ZN9rocsparseL44gtsv_nopivot_strided_batch_pcr_shared_kernelILj32E21rocsparse_complex_numIfEEEviiiPKT0_S5_S5_PS3_.has_dyn_sized_stack, 0
	.set _ZN9rocsparseL44gtsv_nopivot_strided_batch_pcr_shared_kernelILj32E21rocsparse_complex_numIfEEEviiiPKT0_S5_S5_PS3_.has_recursion, 0
	.set _ZN9rocsparseL44gtsv_nopivot_strided_batch_pcr_shared_kernelILj32E21rocsparse_complex_numIfEEEviiiPKT0_S5_S5_PS3_.has_indirect_call, 0
	.section	.AMDGPU.csdata,"",@progbits
; Kernel info:
; codeLenInByte = 3200
; TotalNumSgprs: 10
; NumVgprs: 43
; ScratchSize: 0
; MemoryBound: 0
; FloatMode: 240
; IeeeMode: 1
; LDSByteSize: 1280 bytes/workgroup (compile time only)
; SGPRBlocks: 0
; VGPRBlocks: 2
; NumSGPRsForWavesPerEU: 10
; NumVGPRsForWavesPerEU: 43
; NamedBarCnt: 0
; Occupancy: 16
; WaveLimiterHint : 0
; COMPUTE_PGM_RSRC2:SCRATCH_EN: 0
; COMPUTE_PGM_RSRC2:USER_SGPR: 2
; COMPUTE_PGM_RSRC2:TRAP_HANDLER: 0
; COMPUTE_PGM_RSRC2:TGID_X_EN: 1
; COMPUTE_PGM_RSRC2:TGID_Y_EN: 0
; COMPUTE_PGM_RSRC2:TGID_Z_EN: 0
; COMPUTE_PGM_RSRC2:TIDIG_COMP_CNT: 0
	.section	.text._ZN9rocsparseL44gtsv_nopivot_strided_batch_pcr_shared_kernelILj64E21rocsparse_complex_numIfEEEviiiPKT0_S5_S5_PS3_,"axG",@progbits,_ZN9rocsparseL44gtsv_nopivot_strided_batch_pcr_shared_kernelILj64E21rocsparse_complex_numIfEEEviiiPKT0_S5_S5_PS3_,comdat
	.globl	_ZN9rocsparseL44gtsv_nopivot_strided_batch_pcr_shared_kernelILj64E21rocsparse_complex_numIfEEEviiiPKT0_S5_S5_PS3_ ; -- Begin function _ZN9rocsparseL44gtsv_nopivot_strided_batch_pcr_shared_kernelILj64E21rocsparse_complex_numIfEEEviiiPKT0_S5_S5_PS3_
	.p2align	8
	.type	_ZN9rocsparseL44gtsv_nopivot_strided_batch_pcr_shared_kernelILj64E21rocsparse_complex_numIfEEEviiiPKT0_S5_S5_PS3_,@function
_ZN9rocsparseL44gtsv_nopivot_strided_batch_pcr_shared_kernelILj64E21rocsparse_complex_numIfEEEviiiPKT0_S5_S5_PS3_: ; @_ZN9rocsparseL44gtsv_nopivot_strided_batch_pcr_shared_kernelILj64E21rocsparse_complex_numIfEEEviiiPKT0_S5_S5_PS3_
; %bb.0:
	s_clause 0x1
	s_load_b32 s2, s[0:1], 0x8
	s_load_b32 s3, s[0:1], 0x0
	s_bfe_u32 s4, ttmp6, 0x4000c
	s_and_b32 s5, ttmp6, 15
	s_add_co_i32 s4, s4, 1
	s_getreg_b32 s6, hwreg(HW_REG_IB_STS2, 6, 4)
	s_mul_i32 s4, ttmp9, s4
	v_dual_mov_b32 v2, 0 :: v_dual_mov_b32 v6, 0
	s_add_co_i32 s5, s5, s4
	s_cmp_eq_u32 s6, 0
	v_mov_b32_e32 v7, 0
	s_cselect_b32 s4, ttmp9, s5
	s_wait_kmcnt 0x0
	v_mad_u32 v1, s2, s4, v0
	v_cmp_gt_i32_e64 s2, s3, v0
	s_and_saveexec_b32 s4, s2
	s_cbranch_execz .LBB55_2
; %bb.1:
	s_load_b64 s[6:7], s[0:1], 0x10
	s_wait_kmcnt 0x0
	global_load_b64 v[6:7], v1, s[6:7] scale_offset
.LBB55_2:
	s_wait_xcnt 0x0
	s_or_b32 exec_lo, exec_lo, s4
	v_dual_lshlrev_b32 v8, 3, v0 :: v_dual_mov_b32 v4, 0
	v_mov_b32_e32 v5, 0
	s_wait_loadcnt 0x0
	ds_store_b64 v8, v[6:7]
	s_and_saveexec_b32 s4, s2
	s_cbranch_execz .LBB55_4
; %bb.3:
	s_load_b64 s[6:7], s[0:1], 0x18
	s_wait_kmcnt 0x0
	global_load_b64 v[4:5], v1, s[6:7] scale_offset
.LBB55_4:
	s_wait_xcnt 0x0
	s_or_b32 exec_lo, exec_lo, s4
	s_load_b64 s[4:5], s[0:1], 0x28
	v_mov_b32_e32 v3, 0
	s_wait_loadcnt 0x0
	ds_store_b64 v8, v[4:5] offset:512
	s_and_saveexec_b32 s6, s2
	s_cbranch_execz .LBB55_6
; %bb.5:
	s_wait_xcnt 0x0
	s_load_b64 s[0:1], s[0:1], 0x20
	s_wait_kmcnt 0x0
	global_load_b64 v[2:3], v1, s[0:1] scale_offset
.LBB55_6:
	s_wait_xcnt 0x0
	s_or_b32 exec_lo, exec_lo, s6
	v_or_b32_e32 v6, 0x200, v8
	v_or_b32_e32 v7, 0x400, v8
	v_dual_mov_b32 v4, 0 :: v_dual_mov_b32 v5, 0
	s_wait_loadcnt 0x0
	ds_store_b64 v8, v[2:3] offset:1024
	s_and_saveexec_b32 s0, s2
	s_cbranch_execz .LBB55_8
; %bb.7:
	s_wait_kmcnt 0x0
	global_load_b64 v[4:5], v1, s[4:5] scale_offset
.LBB55_8:
	s_wait_xcnt 0x0
	s_or_b32 exec_lo, exec_lo, s0
	s_add_co_i32 s1, s3, -1
	v_sub_nc_u32_e64 v2, v0, 1 clamp
	v_add_min_i32_e64 v3, v0, 1, s1
	s_wait_loadcnt 0x0
	ds_store_b64 v8, v[4:5] offset:2048
	s_wait_dscnt 0x0
	s_barrier_signal -1
	v_dual_lshlrev_b32 v9, 3, v2 :: v_dual_lshlrev_b32 v18, 3, v3
	s_barrier_wait -1
	ds_load_2addr_stride64_b64 v[2:5], v9 offset1:1
	ds_load_2addr_stride64_b64 v[10:13], v18 offset1:1
	ds_load_b64 v[22:23], v8
	ds_load_b64 v[28:29], v8 offset:2048
	ds_load_b64 v[24:25], v7
	ds_load_b64 v[26:27], v6
	s_wait_dscnt 0x4
	v_mul_f32_e32 v31, v13, v13
	s_delay_alu instid0(VALU_DEP_1) | instskip(NEXT) | instid1(VALU_DEP_1)
	v_dual_mul_f32 v30, v5, v5 :: v_dual_fmac_f32 v31, v12, v12
	v_fmac_f32_e32 v30, v4, v4
	s_delay_alu instid0(VALU_DEP_2) | instskip(NEXT) | instid1(VALU_DEP_2)
	v_div_scale_f32 v33, null, v31, v31, 1.0
	v_div_scale_f32 v32, null, v30, v30, 1.0
	v_div_scale_f32 v36, vcc_lo, 1.0, v30, 1.0
	s_delay_alu instid0(VALU_DEP_3) | instskip(NEXT) | instid1(VALU_DEP_2)
	v_rcp_f32_e32 v35, v33
	v_rcp_f32_e32 v34, v32
	v_div_scale_f32 v37, s0, 1.0, v31, 1.0
	s_delay_alu instid0(TRANS32_DEP_2) | instskip(NEXT) | instid1(TRANS32_DEP_1)
	v_fma_f32 v15, -v33, v35, 1.0
	v_fma_f32 v14, -v32, v34, 1.0
	s_delay_alu instid0(VALU_DEP_1) | instskip(SKIP_2) | instid1(VALU_DEP_3)
	v_dual_fmac_f32 v35, v15, v35 :: v_dual_fmac_f32 v34, v14, v34
	v_sub_nc_u32_e64 v14, v0, 2 clamp
	v_add_min_i32_e64 v15, v0, 2, s1
	v_dual_mul_f32 v39, v37, v35 :: v_dual_mul_f32 v38, v36, v34
	s_delay_alu instid0(VALU_DEP_2) | instskip(SKIP_4) | instid1(VALU_DEP_2)
	v_dual_lshlrev_b32 v40, 3, v14 :: v_dual_lshlrev_b32 v42, 3, v15
	ds_load_2addr_stride64_b64 v[14:17], v9 offset0:2 offset1:4
	v_dual_fma_f32 v41, -v33, v39, v37 :: v_dual_fma_f32 v19, -v32, v38, v36
	s_wait_dscnt 0x4
	v_dual_mul_f32 v9, v5, v23 :: v_dual_mul_f32 v5, v5, -v22
	v_dual_fmac_f32 v39, v41, v35 :: v_dual_fmac_f32 v38, v19, v34
	ds_load_2addr_stride64_b64 v[18:21], v18 offset0:2 offset1:4
	v_fmac_f32_e32 v5, v23, v4
	s_wait_dscnt 0x0
	s_barrier_signal -1
	v_dual_fma_f32 v32, -v32, v38, v36 :: v_dual_mul_f32 v36, v13, -v24
	v_mul_f32_e32 v13, v13, v25
	s_barrier_wait -1
	s_delay_alu instid0(VALU_DEP_2) | instskip(NEXT) | instid1(VALU_DEP_2)
	v_div_fmas_f32 v32, v32, v34, v38
	v_dual_fmac_f32 v36, v25, v12 :: v_dual_fmac_f32 v13, v24, v12
	v_fma_f32 v33, -v33, v39, v37
	s_mov_b32 vcc_lo, s0
	s_delay_alu instid0(VALU_DEP_3) | instskip(SKIP_1) | instid1(VALU_DEP_3)
	v_div_fixup_f32 v23, v32, v30, 1.0
	v_fmac_f32_e32 v9, v22, v4
	v_div_fmas_f32 v33, v33, v35, v39
	s_delay_alu instid0(VALU_DEP_2) | instskip(NEXT) | instid1(VALU_DEP_2)
	v_dual_mul_f32 v4, v5, v23 :: v_dual_mul_f32 v22, v23, v9
	v_div_fixup_f32 v32, v33, v31, 1.0
	s_delay_alu instid0(VALU_DEP_2) | instskip(SKIP_2) | instid1(VALU_DEP_4)
	v_pk_mul_f32 v[24:25], v[4:5], v[14:15] op_sel:[0,1] op_sel_hi:[0,0] neg_lo:[0,1]
	v_pk_mul_f32 v[30:31], v[4:5], v[16:17] op_sel:[0,1] op_sel_hi:[0,0] neg_lo:[0,1]
	v_pk_mul_f32 v[4:5], v[4:5], v[2:3] op_sel:[0,1] op_sel_hi:[0,0] neg_hi:[0,1]
	v_mul_f32_e32 v12, v36, v32
	v_mul_f32_e32 v32, v32, v13
	v_pk_fma_f32 v[14:15], v[14:15], v[22:23], v[24:25] op_sel_hi:[1,0,1]
	v_pk_fma_f32 v[16:17], v[16:17], v[22:23], v[30:31] op_sel_hi:[1,0,1]
	v_pk_fma_f32 v[2:3], v[2:3], v[22:23], v[4:5] op_sel_hi:[1,0,1] neg_lo:[1,0,0] neg_hi:[1,0,0]
	v_pk_mul_f32 v[34:35], v[12:13], v[10:11] op_sel:[0,1] op_sel_hi:[0,0] neg_lo:[0,1]
	v_pk_mul_f32 v[36:37], v[12:13], v[20:21] op_sel:[0,1] op_sel_hi:[0,0] neg_lo:[0,1]
	v_pk_add_f32 v[14:15], v[26:27], v[14:15] neg_lo:[0,1] neg_hi:[0,1]
	v_pk_add_f32 v[16:17], v[28:29], v[16:17] neg_lo:[0,1] neg_hi:[0,1]
	v_pk_mul_f32 v[12:13], v[12:13], v[18:19] op_sel:[0,1] op_sel_hi:[0,0] neg_hi:[0,1]
	v_pk_fma_f32 v[10:11], v[10:11], v[32:33], v[34:35] op_sel_hi:[1,0,1]
	v_pk_fma_f32 v[20:21], v[20:21], v[32:33], v[36:37] op_sel_hi:[1,0,1]
	s_delay_alu instid0(VALU_DEP_3) | instskip(NEXT) | instid1(VALU_DEP_3)
	v_pk_fma_f32 v[4:5], v[18:19], v[32:33], v[12:13] op_sel_hi:[1,0,1] neg_lo:[1,0,0] neg_hi:[1,0,0]
	v_pk_add_f32 v[10:11], v[14:15], v[10:11] neg_lo:[0,1] neg_hi:[0,1]
	s_delay_alu instid0(VALU_DEP_3)
	v_pk_add_f32 v[14:15], v[16:17], v[20:21] neg_lo:[0,1] neg_hi:[0,1]
	ds_store_b64 v6, v[10:11]
	ds_store_b64 v8, v[14:15] offset:2048
	ds_store_b64 v8, v[2:3]
	ds_store_b64 v7, v[4:5]
	s_wait_dscnt 0x0
	s_barrier_signal -1
	s_barrier_wait -1
	ds_load_2addr_stride64_b64 v[2:5], v40 offset1:1
	ds_load_2addr_stride64_b64 v[10:13], v42 offset1:1
	ds_load_b64 v[22:23], v8
	ds_load_b64 v[24:25], v7
	s_wait_dscnt 0x2
	v_mul_f32_e32 v30, v13, v13
	s_delay_alu instid0(VALU_DEP_1) | instskip(NEXT) | instid1(VALU_DEP_1)
	v_dual_mul_f32 v9, v5, v5 :: v_dual_fmac_f32 v30, v12, v12
	v_fmac_f32_e32 v9, v4, v4
	s_delay_alu instid0(VALU_DEP_2) | instskip(NEXT) | instid1(VALU_DEP_2)
	v_div_scale_f32 v32, null, v30, v30, 1.0
	v_div_scale_f32 v31, null, v9, v9, 1.0
	v_div_scale_f32 v35, vcc_lo, 1.0, v9, 1.0
	s_delay_alu instid0(VALU_DEP_3) | instskip(NEXT) | instid1(VALU_DEP_2)
	v_rcp_f32_e32 v34, v32
	v_rcp_f32_e32 v33, v31
	v_div_scale_f32 v36, s0, 1.0, v30, 1.0
	s_delay_alu instid0(TRANS32_DEP_2) | instskip(NEXT) | instid1(TRANS32_DEP_1)
	v_fma_f32 v15, -v32, v34, 1.0
	v_fma_f32 v14, -v31, v33, 1.0
	s_delay_alu instid0(VALU_DEP_1) | instskip(SKIP_2) | instid1(VALU_DEP_3)
	v_dual_fmac_f32 v34, v15, v34 :: v_dual_fmac_f32 v33, v14, v33
	v_sub_nc_u32_e64 v14, v0, 4 clamp
	v_add_min_i32_e64 v15, v0, 4, s1
	v_dual_mul_f32 v38, v36, v34 :: v_dual_mul_f32 v37, v35, v33
	s_delay_alu instid0(VALU_DEP_2)
	v_dual_lshlrev_b32 v39, 3, v14 :: v_dual_lshlrev_b32 v41, 3, v15
	ds_load_2addr_stride64_b64 v[14:17], v40 offset0:2 offset1:4
	v_dual_fma_f32 v40, -v32, v38, v36 :: v_dual_fma_f32 v18, -v31, v37, v35
	ds_load_b64 v[26:27], v6
	ds_load_b64 v[28:29], v8 offset:2048
	v_dual_fmac_f32 v38, v40, v34 :: v_dual_fmac_f32 v37, v18, v33
	s_wait_dscnt 0x4
	v_dual_mul_f32 v40, v5, v23 :: v_dual_mul_f32 v5, v5, -v22
	ds_load_2addr_stride64_b64 v[18:21], v42 offset0:2 offset1:4
	v_dual_fma_f32 v32, -v32, v38, v36 :: v_dual_fma_f32 v31, -v31, v37, v35
	s_wait_dscnt 0x4
	v_mul_f32_e64 v35, v13, -v24
	v_dual_fmac_f32 v5, v23, v4 :: v_dual_mul_f32 v13, v13, v25
	v_fmac_f32_e32 v40, v22, v4
	v_div_fmas_f32 v31, v31, v33, v37
	s_mov_b32 vcc_lo, s0
	s_delay_alu instid0(VALU_DEP_3) | instskip(SKIP_1) | instid1(VALU_DEP_3)
	v_dual_fmac_f32 v35, v25, v12 :: v_dual_fmac_f32 v13, v24, v12
	v_div_fmas_f32 v32, v32, v34, v38
	v_div_fixup_f32 v9, v31, v9, 1.0
	s_wait_dscnt 0x0
	s_barrier_signal -1
	s_barrier_wait -1
	v_div_fixup_f32 v23, v32, v30, 1.0
	v_mul_f32_e32 v4, v5, v9
	v_mul_f32_e32 v22, v9, v40
	s_delay_alu instid0(VALU_DEP_3) | instskip(NEXT) | instid1(VALU_DEP_3)
	v_mul_f32_e32 v12, v35, v23
	v_pk_mul_f32 v[24:25], v[4:5], v[14:15] op_sel:[0,1] op_sel_hi:[0,0] neg_lo:[0,1]
	v_pk_mul_f32 v[30:31], v[4:5], v[16:17] op_sel:[0,1] op_sel_hi:[0,0] neg_lo:[0,1]
	v_mul_f32_e32 v32, v23, v13
	v_pk_mul_f32 v[4:5], v[4:5], v[2:3] op_sel:[0,1] op_sel_hi:[0,0] neg_hi:[0,1]
	v_pk_mul_f32 v[34:35], v[12:13], v[10:11] op_sel:[0,1] op_sel_hi:[0,0] neg_lo:[0,1]
	v_pk_fma_f32 v[14:15], v[14:15], v[22:23], v[24:25] op_sel_hi:[1,0,1]
	v_pk_mul_f32 v[36:37], v[12:13], v[20:21] op_sel:[0,1] op_sel_hi:[0,0] neg_lo:[0,1]
	v_pk_fma_f32 v[16:17], v[16:17], v[22:23], v[30:31] op_sel_hi:[1,0,1]
	v_pk_mul_f32 v[12:13], v[12:13], v[18:19] op_sel:[0,1] op_sel_hi:[0,0] neg_hi:[0,1]
	v_pk_fma_f32 v[10:11], v[10:11], v[32:33], v[34:35] op_sel_hi:[1,0,1]
	v_pk_add_f32 v[14:15], v[26:27], v[14:15] neg_lo:[0,1] neg_hi:[0,1]
	v_pk_fma_f32 v[20:21], v[20:21], v[32:33], v[36:37] op_sel_hi:[1,0,1]
	v_pk_add_f32 v[16:17], v[28:29], v[16:17] neg_lo:[0,1] neg_hi:[0,1]
	v_pk_fma_f32 v[2:3], v[2:3], v[22:23], v[4:5] op_sel_hi:[1,0,1] neg_lo:[1,0,0] neg_hi:[1,0,0]
	v_pk_fma_f32 v[4:5], v[18:19], v[32:33], v[12:13] op_sel_hi:[1,0,1] neg_lo:[1,0,0] neg_hi:[1,0,0]
	v_pk_add_f32 v[10:11], v[14:15], v[10:11] neg_lo:[0,1] neg_hi:[0,1]
	s_delay_alu instid0(VALU_DEP_4)
	v_pk_add_f32 v[14:15], v[16:17], v[20:21] neg_lo:[0,1] neg_hi:[0,1]
	ds_store_b64 v6, v[10:11]
	ds_store_b64 v8, v[14:15] offset:2048
	ds_store_b64 v8, v[2:3]
	ds_store_b64 v7, v[4:5]
	s_wait_dscnt 0x0
	s_barrier_signal -1
	s_barrier_wait -1
	ds_load_2addr_stride64_b64 v[2:5], v39 offset1:1
	ds_load_2addr_stride64_b64 v[10:13], v41 offset1:1
	ds_load_b64 v[22:23], v8
	ds_load_b64 v[24:25], v7
	s_wait_dscnt 0x2
	v_mul_f32_e32 v30, v13, v13
	s_delay_alu instid0(VALU_DEP_1) | instskip(NEXT) | instid1(VALU_DEP_1)
	v_dual_mul_f32 v9, v5, v5 :: v_dual_fmac_f32 v30, v12, v12
	v_fmac_f32_e32 v9, v4, v4
	s_delay_alu instid0(VALU_DEP_2) | instskip(NEXT) | instid1(VALU_DEP_2)
	v_div_scale_f32 v32, null, v30, v30, 1.0
	v_div_scale_f32 v31, null, v9, v9, 1.0
	v_div_scale_f32 v35, vcc_lo, 1.0, v9, 1.0
	s_delay_alu instid0(VALU_DEP_3) | instskip(NEXT) | instid1(VALU_DEP_2)
	v_rcp_f32_e32 v34, v32
	v_rcp_f32_e32 v33, v31
	v_div_scale_f32 v36, s0, 1.0, v30, 1.0
	s_delay_alu instid0(TRANS32_DEP_2) | instskip(NEXT) | instid1(TRANS32_DEP_1)
	v_fma_f32 v15, -v32, v34, 1.0
	v_fma_f32 v14, -v31, v33, 1.0
	s_delay_alu instid0(VALU_DEP_1) | instskip(SKIP_2) | instid1(VALU_DEP_3)
	v_dual_fmac_f32 v34, v15, v34 :: v_dual_fmac_f32 v33, v14, v33
	v_sub_nc_u32_e64 v14, v0, 8 clamp
	v_add_min_i32_e64 v15, v0, 8, s1
	v_dual_mul_f32 v38, v36, v34 :: v_dual_mul_f32 v37, v35, v33
	s_delay_alu instid0(VALU_DEP_2)
	v_dual_lshlrev_b32 v40, 3, v14 :: v_dual_lshlrev_b32 v42, 3, v15
	ds_load_2addr_stride64_b64 v[14:17], v39 offset0:2 offset1:4
	v_dual_fma_f32 v39, -v32, v38, v36 :: v_dual_fma_f32 v18, -v31, v37, v35
	ds_load_b64 v[26:27], v6
	ds_load_b64 v[28:29], v8 offset:2048
	v_dual_fmac_f32 v38, v39, v34 :: v_dual_fmac_f32 v37, v18, v33
	s_wait_dscnt 0x4
	v_dual_mul_f32 v39, v5, v23 :: v_dual_mul_f32 v5, v5, -v22
	ds_load_2addr_stride64_b64 v[18:21], v41 offset0:2 offset1:4
	v_dual_fma_f32 v32, -v32, v38, v36 :: v_dual_fma_f32 v31, -v31, v37, v35
	s_wait_dscnt 0x4
	v_mul_f32_e64 v35, v13, -v24
	v_dual_fmac_f32 v5, v23, v4 :: v_dual_mul_f32 v13, v13, v25
	v_fmac_f32_e32 v39, v22, v4
	v_div_fmas_f32 v31, v31, v33, v37
	s_mov_b32 vcc_lo, s0
	s_delay_alu instid0(VALU_DEP_3) | instskip(SKIP_1) | instid1(VALU_DEP_3)
	v_dual_fmac_f32 v35, v25, v12 :: v_dual_fmac_f32 v13, v24, v12
	v_div_fmas_f32 v32, v32, v34, v38
	v_div_fixup_f32 v9, v31, v9, 1.0
	s_wait_dscnt 0x0
	s_barrier_signal -1
	s_barrier_wait -1
	v_div_fixup_f32 v23, v32, v30, 1.0
	v_mul_f32_e32 v4, v5, v9
	v_mul_f32_e32 v22, v9, v39
	s_delay_alu instid0(VALU_DEP_3) | instskip(NEXT) | instid1(VALU_DEP_3)
	v_mul_f32_e32 v12, v35, v23
	v_pk_mul_f32 v[24:25], v[4:5], v[14:15] op_sel:[0,1] op_sel_hi:[0,0] neg_lo:[0,1]
	v_pk_mul_f32 v[30:31], v[4:5], v[16:17] op_sel:[0,1] op_sel_hi:[0,0] neg_lo:[0,1]
	v_mul_f32_e32 v32, v23, v13
	v_pk_mul_f32 v[4:5], v[4:5], v[2:3] op_sel:[0,1] op_sel_hi:[0,0] neg_hi:[0,1]
	v_pk_mul_f32 v[34:35], v[12:13], v[10:11] op_sel:[0,1] op_sel_hi:[0,0] neg_lo:[0,1]
	v_pk_fma_f32 v[14:15], v[14:15], v[22:23], v[24:25] op_sel_hi:[1,0,1]
	v_pk_mul_f32 v[36:37], v[12:13], v[20:21] op_sel:[0,1] op_sel_hi:[0,0] neg_lo:[0,1]
	v_pk_fma_f32 v[16:17], v[16:17], v[22:23], v[30:31] op_sel_hi:[1,0,1]
	v_pk_mul_f32 v[12:13], v[12:13], v[18:19] op_sel:[0,1] op_sel_hi:[0,0] neg_hi:[0,1]
	v_pk_fma_f32 v[10:11], v[10:11], v[32:33], v[34:35] op_sel_hi:[1,0,1]
	v_pk_add_f32 v[14:15], v[26:27], v[14:15] neg_lo:[0,1] neg_hi:[0,1]
	v_pk_fma_f32 v[20:21], v[20:21], v[32:33], v[36:37] op_sel_hi:[1,0,1]
	v_pk_add_f32 v[16:17], v[28:29], v[16:17] neg_lo:[0,1] neg_hi:[0,1]
	v_pk_fma_f32 v[2:3], v[2:3], v[22:23], v[4:5] op_sel_hi:[1,0,1] neg_lo:[1,0,0] neg_hi:[1,0,0]
	v_pk_fma_f32 v[4:5], v[18:19], v[32:33], v[12:13] op_sel_hi:[1,0,1] neg_lo:[1,0,0] neg_hi:[1,0,0]
	v_pk_add_f32 v[10:11], v[14:15], v[10:11] neg_lo:[0,1] neg_hi:[0,1]
	s_delay_alu instid0(VALU_DEP_4)
	v_pk_add_f32 v[14:15], v[16:17], v[20:21] neg_lo:[0,1] neg_hi:[0,1]
	ds_store_b64 v6, v[10:11]
	ds_store_b64 v8, v[14:15] offset:2048
	ds_store_b64 v8, v[2:3]
	ds_store_b64 v7, v[4:5]
	s_wait_dscnt 0x0
	s_barrier_signal -1
	s_barrier_wait -1
	ds_load_2addr_stride64_b64 v[2:5], v40 offset1:1
	ds_load_2addr_stride64_b64 v[10:13], v42 offset1:1
	ds_load_b64 v[22:23], v8
	ds_load_b64 v[24:25], v7
	s_wait_dscnt 0x2
	v_mul_f32_e32 v30, v13, v13
	s_delay_alu instid0(VALU_DEP_1) | instskip(NEXT) | instid1(VALU_DEP_1)
	v_dual_mul_f32 v9, v5, v5 :: v_dual_fmac_f32 v30, v12, v12
	v_fmac_f32_e32 v9, v4, v4
	s_delay_alu instid0(VALU_DEP_2) | instskip(NEXT) | instid1(VALU_DEP_2)
	v_div_scale_f32 v32, null, v30, v30, 1.0
	v_div_scale_f32 v31, null, v9, v9, 1.0
	v_div_scale_f32 v35, vcc_lo, 1.0, v9, 1.0
	s_delay_alu instid0(VALU_DEP_3) | instskip(NEXT) | instid1(VALU_DEP_2)
	v_rcp_f32_e32 v34, v32
	v_rcp_f32_e32 v33, v31
	v_div_scale_f32 v36, s0, 1.0, v30, 1.0
	s_delay_alu instid0(TRANS32_DEP_2) | instskip(NEXT) | instid1(TRANS32_DEP_1)
	v_fma_f32 v15, -v32, v34, 1.0
	v_fma_f32 v14, -v31, v33, 1.0
	s_delay_alu instid0(VALU_DEP_1) | instskip(SKIP_3) | instid1(VALU_DEP_4)
	v_dual_fmac_f32 v34, v15, v34 :: v_dual_fmac_f32 v33, v14, v33
	v_sub_nc_u32_e64 v14, v0, 16 clamp
	v_add_min_i32_e64 v15, v0, 16, s1
	v_cmp_gt_u32_e64 s1, 32, v0
	v_dual_mul_f32 v38, v36, v34 :: v_dual_mul_f32 v37, v35, v33
	s_delay_alu instid0(VALU_DEP_3)
	v_dual_lshlrev_b32 v39, 3, v14 :: v_dual_lshlrev_b32 v41, 3, v15
	ds_load_2addr_stride64_b64 v[14:17], v40 offset0:2 offset1:4
	v_dual_fma_f32 v40, -v32, v38, v36 :: v_dual_fma_f32 v18, -v31, v37, v35
	ds_load_b64 v[26:27], v6
	ds_load_b64 v[28:29], v8 offset:2048
	v_dual_fmac_f32 v38, v40, v34 :: v_dual_fmac_f32 v37, v18, v33
	s_wait_dscnt 0x4
	v_dual_mul_f32 v40, v5, v23 :: v_dual_mul_f32 v5, v5, -v22
	ds_load_2addr_stride64_b64 v[18:21], v42 offset0:2 offset1:4
	v_dual_fma_f32 v32, -v32, v38, v36 :: v_dual_fma_f32 v31, -v31, v37, v35
	s_wait_dscnt 0x4
	v_mul_f32_e64 v35, v13, -v24
	v_dual_fmac_f32 v5, v23, v4 :: v_dual_mul_f32 v13, v13, v25
	v_fmac_f32_e32 v40, v22, v4
	v_div_fmas_f32 v31, v31, v33, v37
	s_mov_b32 vcc_lo, s0
	s_delay_alu instid0(VALU_DEP_3) | instskip(SKIP_1) | instid1(VALU_DEP_3)
	v_dual_fmac_f32 v35, v25, v12 :: v_dual_fmac_f32 v13, v24, v12
	v_div_fmas_f32 v32, v32, v34, v38
	v_div_fixup_f32 v9, v31, v9, 1.0
	s_wait_dscnt 0x0
	s_barrier_signal -1
	s_barrier_wait -1
	v_div_fixup_f32 v23, v32, v30, 1.0
	v_mul_f32_e32 v4, v5, v9
	v_mul_f32_e32 v22, v9, v40
	s_delay_alu instid0(VALU_DEP_3) | instskip(NEXT) | instid1(VALU_DEP_3)
	v_mul_f32_e32 v12, v35, v23
	v_pk_mul_f32 v[24:25], v[4:5], v[14:15] op_sel:[0,1] op_sel_hi:[0,0] neg_lo:[0,1]
	v_pk_mul_f32 v[30:31], v[4:5], v[16:17] op_sel:[0,1] op_sel_hi:[0,0] neg_lo:[0,1]
	v_mul_f32_e32 v32, v23, v13
	v_pk_mul_f32 v[4:5], v[4:5], v[2:3] op_sel:[0,1] op_sel_hi:[0,0] neg_hi:[0,1]
	v_pk_mul_f32 v[34:35], v[12:13], v[10:11] op_sel:[0,1] op_sel_hi:[0,0] neg_lo:[0,1]
	v_pk_fma_f32 v[14:15], v[14:15], v[22:23], v[24:25] op_sel_hi:[1,0,1]
	v_pk_mul_f32 v[36:37], v[12:13], v[20:21] op_sel:[0,1] op_sel_hi:[0,0] neg_lo:[0,1]
	v_pk_fma_f32 v[16:17], v[16:17], v[22:23], v[30:31] op_sel_hi:[1,0,1]
	v_pk_mul_f32 v[12:13], v[12:13], v[18:19] op_sel:[0,1] op_sel_hi:[0,0] neg_hi:[0,1]
	v_pk_fma_f32 v[10:11], v[10:11], v[32:33], v[34:35] op_sel_hi:[1,0,1]
	v_pk_add_f32 v[14:15], v[26:27], v[14:15] neg_lo:[0,1] neg_hi:[0,1]
	v_pk_fma_f32 v[20:21], v[20:21], v[32:33], v[36:37] op_sel_hi:[1,0,1]
	v_pk_add_f32 v[16:17], v[28:29], v[16:17] neg_lo:[0,1] neg_hi:[0,1]
	v_pk_fma_f32 v[2:3], v[2:3], v[22:23], v[4:5] op_sel_hi:[1,0,1] neg_lo:[1,0,0] neg_hi:[1,0,0]
	v_pk_fma_f32 v[4:5], v[18:19], v[32:33], v[12:13] op_sel_hi:[1,0,1] neg_lo:[1,0,0] neg_hi:[1,0,0]
	v_pk_add_f32 v[10:11], v[14:15], v[10:11] neg_lo:[0,1] neg_hi:[0,1]
	s_delay_alu instid0(VALU_DEP_4)
	v_pk_add_f32 v[14:15], v[16:17], v[20:21] neg_lo:[0,1] neg_hi:[0,1]
	ds_store_b64 v6, v[10:11]
	ds_store_b64 v8, v[14:15] offset:2048
	ds_store_b64 v8, v[2:3]
	ds_store_b64 v7, v[4:5]
	s_wait_dscnt 0x0
	s_barrier_signal -1
	s_barrier_wait -1
	ds_load_2addr_stride64_b64 v[2:5], v39 offset1:1
	ds_load_2addr_stride64_b64 v[10:13], v41 offset1:1
	ds_load_b64 v[22:23], v8
	ds_load_b64 v[24:25], v7
	s_wait_dscnt 0x2
	v_mul_f32_e32 v30, v13, v13
	s_delay_alu instid0(VALU_DEP_1) | instskip(NEXT) | instid1(VALU_DEP_1)
	v_dual_mul_f32 v9, v5, v5 :: v_dual_fmac_f32 v30, v12, v12
	v_fmac_f32_e32 v9, v4, v4
	s_delay_alu instid0(VALU_DEP_2) | instskip(NEXT) | instid1(VALU_DEP_2)
	v_div_scale_f32 v32, null, v30, v30, 1.0
	v_div_scale_f32 v31, null, v9, v9, 1.0
	v_div_scale_f32 v35, vcc_lo, 1.0, v9, 1.0
	s_delay_alu instid0(VALU_DEP_3) | instskip(NEXT) | instid1(VALU_DEP_2)
	v_rcp_f32_e32 v34, v32
	v_rcp_f32_e32 v33, v31
	v_div_scale_f32 v36, s0, 1.0, v30, 1.0
	s_delay_alu instid0(TRANS32_DEP_2) | instskip(NEXT) | instid1(TRANS32_DEP_1)
	v_fma_f32 v15, -v32, v34, 1.0
	v_fma_f32 v14, -v31, v33, 1.0
	s_delay_alu instid0(VALU_DEP_1) | instskip(SKIP_4) | instid1(VALU_DEP_1)
	v_dual_fmac_f32 v34, v15, v34 :: v_dual_fmac_f32 v33, v14, v33
	ds_load_2addr_stride64_b64 v[14:17], v39 offset0:2 offset1:4
	ds_load_b64 v[26:27], v6
	ds_load_b64 v[28:29], v8 offset:2048
	v_dual_mul_f32 v38, v36, v34 :: v_dual_mul_f32 v37, v35, v33
	v_dual_fma_f32 v39, -v32, v38, v36 :: v_dual_fma_f32 v18, -v31, v37, v35
	s_delay_alu instid0(VALU_DEP_1)
	v_dual_fmac_f32 v38, v39, v34 :: v_dual_fmac_f32 v37, v18, v33
	s_wait_dscnt 0x4
	v_dual_mul_f32 v39, v5, v23 :: v_dual_mul_f32 v5, v5, -v22
	ds_load_2addr_stride64_b64 v[18:21], v41 offset0:2 offset1:4
	v_dual_fma_f32 v32, -v32, v38, v36 :: v_dual_fma_f32 v31, -v31, v37, v35
	s_wait_dscnt 0x4
	v_mul_f32_e64 v35, v13, -v24
	v_dual_fmac_f32 v5, v23, v4 :: v_dual_mul_f32 v13, v13, v25
	v_fmac_f32_e32 v39, v22, v4
	v_div_fmas_f32 v31, v31, v33, v37
	s_mov_b32 vcc_lo, s0
	s_delay_alu instid0(VALU_DEP_3) | instskip(SKIP_1) | instid1(VALU_DEP_3)
	v_dual_fmac_f32 v35, v25, v12 :: v_dual_fmac_f32 v13, v24, v12
	v_div_fmas_f32 v32, v32, v34, v38
	v_div_fixup_f32 v9, v31, v9, 1.0
	s_wait_dscnt 0x0
	s_barrier_signal -1
	s_barrier_wait -1
	v_div_fixup_f32 v23, v32, v30, 1.0
	v_mul_f32_e32 v4, v5, v9
	v_mul_f32_e32 v22, v9, v39
	s_delay_alu instid0(VALU_DEP_3) | instskip(NEXT) | instid1(VALU_DEP_3)
	v_mul_f32_e32 v12, v35, v23
	v_pk_mul_f32 v[24:25], v[4:5], v[14:15] op_sel:[0,1] op_sel_hi:[0,0] neg_lo:[0,1]
	v_pk_mul_f32 v[30:31], v[4:5], v[16:17] op_sel:[0,1] op_sel_hi:[0,0] neg_lo:[0,1]
	v_mul_f32_e32 v32, v23, v13
	v_pk_mul_f32 v[4:5], v[4:5], v[2:3] op_sel:[0,1] op_sel_hi:[0,0] neg_hi:[0,1]
	v_pk_mul_f32 v[34:35], v[12:13], v[10:11] op_sel:[0,1] op_sel_hi:[0,0] neg_lo:[0,1]
	v_pk_fma_f32 v[14:15], v[14:15], v[22:23], v[24:25] op_sel_hi:[1,0,1]
	v_pk_mul_f32 v[36:37], v[12:13], v[20:21] op_sel:[0,1] op_sel_hi:[0,0] neg_lo:[0,1]
	v_pk_fma_f32 v[16:17], v[16:17], v[22:23], v[30:31] op_sel_hi:[1,0,1]
	v_pk_mul_f32 v[12:13], v[12:13], v[18:19] op_sel:[0,1] op_sel_hi:[0,0] neg_hi:[0,1]
	v_pk_fma_f32 v[10:11], v[10:11], v[32:33], v[34:35] op_sel_hi:[1,0,1]
	v_pk_add_f32 v[14:15], v[26:27], v[14:15] neg_lo:[0,1] neg_hi:[0,1]
	v_pk_fma_f32 v[20:21], v[20:21], v[32:33], v[36:37] op_sel_hi:[1,0,1]
	v_pk_add_f32 v[16:17], v[28:29], v[16:17] neg_lo:[0,1] neg_hi:[0,1]
	v_pk_fma_f32 v[2:3], v[2:3], v[22:23], v[4:5] op_sel_hi:[1,0,1] neg_lo:[1,0,0] neg_hi:[1,0,0]
	v_pk_fma_f32 v[4:5], v[18:19], v[32:33], v[12:13] op_sel_hi:[1,0,1] neg_lo:[1,0,0] neg_hi:[1,0,0]
	v_pk_add_f32 v[10:11], v[14:15], v[10:11] neg_lo:[0,1] neg_hi:[0,1]
	s_delay_alu instid0(VALU_DEP_4)
	v_pk_add_f32 v[14:15], v[16:17], v[20:21] neg_lo:[0,1] neg_hi:[0,1]
	ds_store_b64 v6, v[10:11]
	ds_store_b64 v8, v[14:15] offset:2048
	ds_store_b64 v8, v[2:3]
	ds_store_b64 v7, v[4:5]
	s_wait_dscnt 0x0
	s_barrier_signal -1
	s_barrier_wait -1
	s_and_saveexec_b32 s0, s1
	s_cbranch_execz .LBB55_14
; %bb.9:
	v_or_b32_e32 v4, 32, v0
	v_or_b32_e32 v5, 0x800, v8
	s_mov_b32 s1, exec_lo
                                        ; implicit-def: $vgpr2_vgpr3
	s_delay_alu instid0(VALU_DEP_2)
	v_cmpx_le_i32_e64 s3, v4
	s_xor_b32 s1, exec_lo, s1
	s_cbranch_execz .LBB55_11
; %bb.10:
	ds_load_b64 v[2:3], v6
	s_wait_dscnt 0x0
	v_mul_f32_e32 v9, v3, v3
	s_delay_alu instid0(VALU_DEP_1) | instskip(NEXT) | instid1(VALU_DEP_1)
	v_fmac_f32_e32 v9, v2, v2
	v_div_scale_f32 v6, null, v9, v9, 1.0
	s_delay_alu instid0(VALU_DEP_1) | instskip(SKIP_1) | instid1(TRANS32_DEP_1)
	v_rcp_f32_e32 v7, v6
	v_nop
	v_fma_f32 v4, -v6, v7, 1.0
	s_delay_alu instid0(VALU_DEP_1) | instskip(SKIP_3) | instid1(VALU_DEP_1)
	v_fmac_f32_e32 v7, v4, v7
	v_div_scale_f32 v10, vcc_lo, 1.0, v9, 1.0
	ds_load_b64 v[4:5], v5
	v_mul_f32_e32 v11, v10, v7
	v_fma_f32 v12, -v6, v11, v10
	s_delay_alu instid0(VALU_DEP_1) | instskip(NEXT) | instid1(VALU_DEP_1)
	v_fmac_f32_e32 v11, v12, v7
	v_fma_f32 v6, -v6, v11, v10
	s_delay_alu instid0(VALU_DEP_1) | instskip(SKIP_2) | instid1(VALU_DEP_2)
	v_div_fmas_f32 v10, v6, v7, v11
	s_wait_dscnt 0x0
	v_pk_mul_f32 v[6:7], v[2:3], v[4:5] op_sel:[1,1] op_sel_hi:[1,0] neg_hi:[0,1]
	v_div_fixup_f32 v10, v10, v9, 1.0
	s_delay_alu instid0(VALU_DEP_2) | instskip(NEXT) | instid1(VALU_DEP_1)
	v_pk_fma_f32 v[2:3], v[4:5], v[2:3], v[6:7] op_sel_hi:[1,0,1]
                                        ; implicit-def: $vgpr6
                                        ; implicit-def: $vgpr7
                                        ; implicit-def: $vgpr5
                                        ; implicit-def: $vgpr4
	v_pk_mul_f32 v[2:3], v[10:11], v[2:3] op_sel_hi:[0,1]
.LBB55_11:
	s_and_not1_saveexec_b32 s1, s1
	s_cbranch_execz .LBB55_13
; %bb.12:
	ds_load_2addr_b64 v[10:13], v6 offset1:32
	ds_load_b64 v[2:3], v7
	ds_load_b32 v0, v5
	ds_load_b64 v[6:7], v5
	ds_load_b64 v[14:15], v8 offset:256
	s_wait_dscnt 0x4
	v_pk_mul_f32 v[16:17], v[10:11], v[12:13] op_sel:[1,1] op_sel_hi:[1,0] neg_lo:[0,1]
	s_wait_dscnt 0x0
	v_pk_mul_f32 v[18:19], v[14:15], v[2:3] op_sel:[1,1] op_sel_hi:[1,0] neg_lo:[0,1]
	s_delay_alu instid0(VALU_DEP_2) | instskip(SKIP_1) | instid1(VALU_DEP_3)
	v_pk_fma_f32 v[16:17], v[12:13], v[10:11], v[16:17] op_sel_hi:[1,0,1]
	v_pk_mul_f32 v[28:29], v[14:15], v[6:7] op_sel:[1,1] op_sel_hi:[1,0] neg_lo:[0,1]
	v_pk_fma_f32 v[18:19], v[2:3], v[14:15], v[18:19] op_sel_hi:[1,0,1]
	s_delay_alu instid0(VALU_DEP_2) | instskip(NEXT) | instid1(VALU_DEP_2)
	v_pk_fma_f32 v[6:7], v[6:7], v[14:15], v[28:29] op_sel_hi:[1,0,1]
	v_pk_add_f32 v[16:17], v[16:17], v[18:19] neg_lo:[0,1] neg_hi:[0,1]
	ds_load_2addr_b32 v[18:19], v5 offset0:1 offset1:64
	ds_load_b32 v20, v5 offset:260
	ds_load_b64 v[22:23], v5 offset:256
	v_mul_f32_e32 v9, v17, v17
	s_delay_alu instid0(VALU_DEP_1) | instskip(NEXT) | instid1(VALU_DEP_1)
	v_fmac_f32_e32 v9, v16, v16
	v_div_scale_f32 v26, null, v9, v9, 1.0
	s_wait_dscnt 0x2
	v_pk_mul_f32 v[24:25], v[18:19], v[12:13] op_sel:[0,1] op_sel_hi:[0,0] neg_lo:[0,1]
	s_delay_alu instid0(VALU_DEP_2) | instskip(SKIP_1) | instid1(VALU_DEP_2)
	v_rcp_f32_e32 v30, v26
	v_mov_b32_e32 v18, v19
	v_pk_fma_f32 v[12:13], v[12:13], v[0:1], v[24:25] op_sel_hi:[1,0,1]
	v_fma_f32 v0, v16, 0, -v17
	s_delay_alu instid0(TRANS32_DEP_1) | instskip(NEXT) | instid1(VALU_DEP_1)
	v_fma_f32 v21, -v26, v30, 1.0
	v_fmac_f32_e32 v30, v21, v30
	v_div_scale_f32 v27, vcc_lo, 1.0, v9, 1.0
	s_delay_alu instid0(VALU_DEP_1) | instskip(NEXT) | instid1(VALU_DEP_1)
	v_mul_f32_e32 v5, v27, v30
	v_fma_f32 v21, -v26, v5, v27
	s_delay_alu instid0(VALU_DEP_1) | instskip(SKIP_2) | instid1(VALU_DEP_2)
	v_fmac_f32_e32 v5, v21, v30
	s_wait_dscnt 0x1
	v_pk_mul_f32 v[20:21], v[20:21], v[2:3] op_sel:[0,1] op_sel_hi:[0,0] neg_lo:[0,1]
	v_fma_f32 v19, -v26, v5, v27
	s_wait_dscnt 0x0
	v_pk_mul_f32 v[26:27], v[10:11], v[22:23] op_sel:[1,1] op_sel_hi:[1,0] neg_lo:[0,1]
	s_delay_alu instid0(VALU_DEP_2) | instskip(NEXT) | instid1(VALU_DEP_2)
	v_div_fmas_f32 v5, v19, v30, v5
	v_pk_fma_f32 v[10:11], v[22:23], v[10:11], v[26:27] op_sel_hi:[1,0,1]
	s_delay_alu instid0(VALU_DEP_2) | instskip(SKIP_1) | instid1(VALU_DEP_3)
	v_div_fixup_f32 v5, v5, v9, 1.0
	v_fma_f32 v9, 0, v17, v16
	v_pk_add_f32 v[6:7], v[10:11], v[6:7] neg_lo:[0,1] neg_hi:[0,1]
	s_delay_alu instid0(VALU_DEP_3) | instskip(SKIP_1) | instid1(VALU_DEP_4)
	v_mul_f32_e32 v0, v0, v5
	v_pk_fma_f32 v[2:3], v[2:3], v[18:19], v[20:21] op_sel_hi:[1,0,1]
	v_mul_f32_e32 v10, v9, v5
	s_delay_alu instid0(VALU_DEP_3) | instskip(NEXT) | instid1(VALU_DEP_3)
	v_pk_mul_f32 v[14:15], v[0:1], v[6:7] op_sel:[0,1] op_sel_hi:[0,0] neg_lo:[0,1]
	v_pk_add_f32 v[2:3], v[12:13], v[2:3] neg_lo:[0,1] neg_hi:[0,1]
	s_delay_alu instid0(VALU_DEP_1) | instskip(SKIP_1) | instid1(VALU_DEP_2)
	v_pk_mul_f32 v[12:13], v[0:1], v[2:3] op_sel:[0,1] op_sel_hi:[0,0] neg_lo:[0,1]
	v_mov_b32_e32 v0, v4
	v_pk_fma_f32 v[12:13], v[2:3], v[10:11], v[12:13] op_sel_hi:[1,0,1]
	v_pk_fma_f32 v[2:3], v[6:7], v[10:11], v[14:15] op_sel_hi:[1,0,1]
	ds_store_b64 v8, v[12:13] offset:1536
.LBB55_13:
	s_or_b32 exec_lo, exec_lo, s1
	v_lshlrev_b32_e32 v0, 3, v0
	ds_store_b64 v0, v[2:3] offset:1536
.LBB55_14:
	s_or_b32 exec_lo, exec_lo, s0
	s_wait_dscnt 0x0
	s_barrier_signal -1
	s_barrier_wait -1
	s_and_saveexec_b32 s0, s2
	s_cbranch_execz .LBB55_16
; %bb.15:
	ds_load_b64 v[2:3], v8 offset:1536
	s_wait_dscnt 0x0
	s_wait_kmcnt 0x0
	global_store_b64 v1, v[2:3], s[4:5] scale_offset
.LBB55_16:
	s_endpgm
	.section	.rodata,"a",@progbits
	.p2align	6, 0x0
	.amdhsa_kernel _ZN9rocsparseL44gtsv_nopivot_strided_batch_pcr_shared_kernelILj64E21rocsparse_complex_numIfEEEviiiPKT0_S5_S5_PS3_
		.amdhsa_group_segment_fixed_size 2560
		.amdhsa_private_segment_fixed_size 0
		.amdhsa_kernarg_size 48
		.amdhsa_user_sgpr_count 2
		.amdhsa_user_sgpr_dispatch_ptr 0
		.amdhsa_user_sgpr_queue_ptr 0
		.amdhsa_user_sgpr_kernarg_segment_ptr 1
		.amdhsa_user_sgpr_dispatch_id 0
		.amdhsa_user_sgpr_kernarg_preload_length 0
		.amdhsa_user_sgpr_kernarg_preload_offset 0
		.amdhsa_user_sgpr_private_segment_size 0
		.amdhsa_wavefront_size32 1
		.amdhsa_uses_dynamic_stack 0
		.amdhsa_enable_private_segment 0
		.amdhsa_system_sgpr_workgroup_id_x 1
		.amdhsa_system_sgpr_workgroup_id_y 0
		.amdhsa_system_sgpr_workgroup_id_z 0
		.amdhsa_system_sgpr_workgroup_info 0
		.amdhsa_system_vgpr_workitem_id 0
		.amdhsa_next_free_vgpr 43
		.amdhsa_next_free_sgpr 8
		.amdhsa_named_barrier_count 0
		.amdhsa_reserve_vcc 1
		.amdhsa_float_round_mode_32 0
		.amdhsa_float_round_mode_16_64 0
		.amdhsa_float_denorm_mode_32 3
		.amdhsa_float_denorm_mode_16_64 3
		.amdhsa_fp16_overflow 0
		.amdhsa_memory_ordered 1
		.amdhsa_forward_progress 1
		.amdhsa_inst_pref_size 30
		.amdhsa_round_robin_scheduling 0
		.amdhsa_exception_fp_ieee_invalid_op 0
		.amdhsa_exception_fp_denorm_src 0
		.amdhsa_exception_fp_ieee_div_zero 0
		.amdhsa_exception_fp_ieee_overflow 0
		.amdhsa_exception_fp_ieee_underflow 0
		.amdhsa_exception_fp_ieee_inexact 0
		.amdhsa_exception_int_div_zero 0
	.end_amdhsa_kernel
	.section	.text._ZN9rocsparseL44gtsv_nopivot_strided_batch_pcr_shared_kernelILj64E21rocsparse_complex_numIfEEEviiiPKT0_S5_S5_PS3_,"axG",@progbits,_ZN9rocsparseL44gtsv_nopivot_strided_batch_pcr_shared_kernelILj64E21rocsparse_complex_numIfEEEviiiPKT0_S5_S5_PS3_,comdat
.Lfunc_end55:
	.size	_ZN9rocsparseL44gtsv_nopivot_strided_batch_pcr_shared_kernelILj64E21rocsparse_complex_numIfEEEviiiPKT0_S5_S5_PS3_, .Lfunc_end55-_ZN9rocsparseL44gtsv_nopivot_strided_batch_pcr_shared_kernelILj64E21rocsparse_complex_numIfEEEviiiPKT0_S5_S5_PS3_
                                        ; -- End function
	.set _ZN9rocsparseL44gtsv_nopivot_strided_batch_pcr_shared_kernelILj64E21rocsparse_complex_numIfEEEviiiPKT0_S5_S5_PS3_.num_vgpr, 43
	.set _ZN9rocsparseL44gtsv_nopivot_strided_batch_pcr_shared_kernelILj64E21rocsparse_complex_numIfEEEviiiPKT0_S5_S5_PS3_.num_agpr, 0
	.set _ZN9rocsparseL44gtsv_nopivot_strided_batch_pcr_shared_kernelILj64E21rocsparse_complex_numIfEEEviiiPKT0_S5_S5_PS3_.numbered_sgpr, 8
	.set _ZN9rocsparseL44gtsv_nopivot_strided_batch_pcr_shared_kernelILj64E21rocsparse_complex_numIfEEEviiiPKT0_S5_S5_PS3_.num_named_barrier, 0
	.set _ZN9rocsparseL44gtsv_nopivot_strided_batch_pcr_shared_kernelILj64E21rocsparse_complex_numIfEEEviiiPKT0_S5_S5_PS3_.private_seg_size, 0
	.set _ZN9rocsparseL44gtsv_nopivot_strided_batch_pcr_shared_kernelILj64E21rocsparse_complex_numIfEEEviiiPKT0_S5_S5_PS3_.uses_vcc, 1
	.set _ZN9rocsparseL44gtsv_nopivot_strided_batch_pcr_shared_kernelILj64E21rocsparse_complex_numIfEEEviiiPKT0_S5_S5_PS3_.uses_flat_scratch, 0
	.set _ZN9rocsparseL44gtsv_nopivot_strided_batch_pcr_shared_kernelILj64E21rocsparse_complex_numIfEEEviiiPKT0_S5_S5_PS3_.has_dyn_sized_stack, 0
	.set _ZN9rocsparseL44gtsv_nopivot_strided_batch_pcr_shared_kernelILj64E21rocsparse_complex_numIfEEEviiiPKT0_S5_S5_PS3_.has_recursion, 0
	.set _ZN9rocsparseL44gtsv_nopivot_strided_batch_pcr_shared_kernelILj64E21rocsparse_complex_numIfEEEviiiPKT0_S5_S5_PS3_.has_indirect_call, 0
	.section	.AMDGPU.csdata,"",@progbits
; Kernel info:
; codeLenInByte = 3780
; TotalNumSgprs: 10
; NumVgprs: 43
; ScratchSize: 0
; MemoryBound: 0
; FloatMode: 240
; IeeeMode: 1
; LDSByteSize: 2560 bytes/workgroup (compile time only)
; SGPRBlocks: 0
; VGPRBlocks: 2
; NumSGPRsForWavesPerEU: 10
; NumVGPRsForWavesPerEU: 43
; NamedBarCnt: 0
; Occupancy: 16
; WaveLimiterHint : 0
; COMPUTE_PGM_RSRC2:SCRATCH_EN: 0
; COMPUTE_PGM_RSRC2:USER_SGPR: 2
; COMPUTE_PGM_RSRC2:TRAP_HANDLER: 0
; COMPUTE_PGM_RSRC2:TGID_X_EN: 1
; COMPUTE_PGM_RSRC2:TGID_Y_EN: 0
; COMPUTE_PGM_RSRC2:TGID_Z_EN: 0
; COMPUTE_PGM_RSRC2:TIDIG_COMP_CNT: 0
	.section	.text._ZN9rocsparseL44gtsv_nopivot_strided_batch_pcr_shared_kernelILj128E21rocsparse_complex_numIfEEEviiiPKT0_S5_S5_PS3_,"axG",@progbits,_ZN9rocsparseL44gtsv_nopivot_strided_batch_pcr_shared_kernelILj128E21rocsparse_complex_numIfEEEviiiPKT0_S5_S5_PS3_,comdat
	.globl	_ZN9rocsparseL44gtsv_nopivot_strided_batch_pcr_shared_kernelILj128E21rocsparse_complex_numIfEEEviiiPKT0_S5_S5_PS3_ ; -- Begin function _ZN9rocsparseL44gtsv_nopivot_strided_batch_pcr_shared_kernelILj128E21rocsparse_complex_numIfEEEviiiPKT0_S5_S5_PS3_
	.p2align	8
	.type	_ZN9rocsparseL44gtsv_nopivot_strided_batch_pcr_shared_kernelILj128E21rocsparse_complex_numIfEEEviiiPKT0_S5_S5_PS3_,@function
_ZN9rocsparseL44gtsv_nopivot_strided_batch_pcr_shared_kernelILj128E21rocsparse_complex_numIfEEEviiiPKT0_S5_S5_PS3_: ; @_ZN9rocsparseL44gtsv_nopivot_strided_batch_pcr_shared_kernelILj128E21rocsparse_complex_numIfEEEviiiPKT0_S5_S5_PS3_
; %bb.0:
	s_clause 0x1
	s_load_b32 s2, s[0:1], 0x8
	s_load_b32 s3, s[0:1], 0x0
	s_bfe_u32 s4, ttmp6, 0x4000c
	s_and_b32 s5, ttmp6, 15
	s_add_co_i32 s4, s4, 1
	s_getreg_b32 s6, hwreg(HW_REG_IB_STS2, 6, 4)
	s_mul_i32 s4, ttmp9, s4
	v_dual_mov_b32 v2, 0 :: v_dual_mov_b32 v6, 0
	s_add_co_i32 s5, s5, s4
	s_cmp_eq_u32 s6, 0
	v_mov_b32_e32 v7, 0
	s_cselect_b32 s4, ttmp9, s5
	s_wait_kmcnt 0x0
	v_mad_u32 v1, s2, s4, v0
	v_cmp_gt_i32_e64 s2, s3, v0
	s_and_saveexec_b32 s4, s2
	s_cbranch_execz .LBB56_2
; %bb.1:
	s_load_b64 s[6:7], s[0:1], 0x10
	s_wait_kmcnt 0x0
	global_load_b64 v[6:7], v1, s[6:7] scale_offset
.LBB56_2:
	s_wait_xcnt 0x0
	s_or_b32 exec_lo, exec_lo, s4
	v_dual_lshlrev_b32 v8, 3, v0 :: v_dual_mov_b32 v4, 0
	v_mov_b32_e32 v5, 0
	s_wait_loadcnt 0x0
	ds_store_b64 v8, v[6:7]
	s_and_saveexec_b32 s4, s2
	s_cbranch_execz .LBB56_4
; %bb.3:
	s_load_b64 s[6:7], s[0:1], 0x18
	s_wait_kmcnt 0x0
	global_load_b64 v[4:5], v1, s[6:7] scale_offset
.LBB56_4:
	s_wait_xcnt 0x0
	s_or_b32 exec_lo, exec_lo, s4
	s_load_b64 s[4:5], s[0:1], 0x28
	v_mov_b32_e32 v3, 0
	s_wait_loadcnt 0x0
	ds_store_b64 v8, v[4:5] offset:1024
	s_and_saveexec_b32 s6, s2
	s_cbranch_execz .LBB56_6
; %bb.5:
	s_wait_xcnt 0x0
	s_load_b64 s[0:1], s[0:1], 0x20
	s_wait_kmcnt 0x0
	global_load_b64 v[2:3], v1, s[0:1] scale_offset
.LBB56_6:
	s_wait_xcnt 0x0
	s_or_b32 exec_lo, exec_lo, s6
	v_or_b32_e32 v6, 0x400, v8
	v_or_b32_e32 v7, 0x800, v8
	v_dual_mov_b32 v4, 0 :: v_dual_mov_b32 v5, 0
	s_wait_loadcnt 0x0
	ds_store_b64 v8, v[2:3] offset:2048
	s_and_saveexec_b32 s0, s2
	s_cbranch_execz .LBB56_8
; %bb.7:
	s_wait_kmcnt 0x0
	global_load_b64 v[4:5], v1, s[4:5] scale_offset
.LBB56_8:
	s_wait_xcnt 0x0
	s_or_b32 exec_lo, exec_lo, s0
	s_add_co_i32 s1, s3, -1
	v_sub_nc_u32_e64 v2, v0, 1 clamp
	v_add_min_i32_e64 v3, v0, 1, s1
	s_wait_loadcnt 0x0
	ds_store_b64 v8, v[4:5] offset:4096
	s_wait_dscnt 0x0
	s_barrier_signal -1
	v_dual_lshlrev_b32 v9, 3, v2 :: v_dual_lshlrev_b32 v18, 3, v3
	s_barrier_wait -1
	ds_load_2addr_stride64_b64 v[2:5], v9 offset1:2
	ds_load_2addr_stride64_b64 v[10:13], v18 offset1:2
	ds_load_b64 v[22:23], v8
	ds_load_b64 v[24:25], v7
	;; [unrolled: 1-line block ×3, first 2 shown]
	ds_load_b64 v[28:29], v8 offset:4096
	s_wait_dscnt 0x4
	v_mul_f32_e32 v31, v13, v13
	s_delay_alu instid0(VALU_DEP_1) | instskip(NEXT) | instid1(VALU_DEP_1)
	v_dual_mul_f32 v30, v5, v5 :: v_dual_fmac_f32 v31, v12, v12
	v_fmac_f32_e32 v30, v4, v4
	s_delay_alu instid0(VALU_DEP_2) | instskip(NEXT) | instid1(VALU_DEP_2)
	v_div_scale_f32 v33, null, v31, v31, 1.0
	v_div_scale_f32 v32, null, v30, v30, 1.0
	v_div_scale_f32 v36, vcc_lo, 1.0, v30, 1.0
	s_delay_alu instid0(VALU_DEP_3) | instskip(NEXT) | instid1(VALU_DEP_2)
	v_rcp_f32_e32 v35, v33
	v_rcp_f32_e32 v34, v32
	v_div_scale_f32 v37, s0, 1.0, v31, 1.0
	s_delay_alu instid0(TRANS32_DEP_2) | instskip(NEXT) | instid1(TRANS32_DEP_1)
	v_fma_f32 v15, -v33, v35, 1.0
	v_fma_f32 v14, -v32, v34, 1.0
	s_delay_alu instid0(VALU_DEP_1) | instskip(SKIP_2) | instid1(VALU_DEP_3)
	v_dual_fmac_f32 v35, v15, v35 :: v_dual_fmac_f32 v34, v14, v34
	v_sub_nc_u32_e64 v14, v0, 2 clamp
	v_add_min_i32_e64 v15, v0, 2, s1
	v_dual_mul_f32 v39, v37, v35 :: v_dual_mul_f32 v38, v36, v34
	s_delay_alu instid0(VALU_DEP_2) | instskip(SKIP_4) | instid1(VALU_DEP_2)
	v_dual_lshlrev_b32 v40, 3, v14 :: v_dual_lshlrev_b32 v42, 3, v15
	ds_load_2addr_stride64_b64 v[14:17], v9 offset0:4 offset1:8
	v_dual_fma_f32 v41, -v33, v39, v37 :: v_dual_fma_f32 v19, -v32, v38, v36
	s_wait_dscnt 0x4
	v_dual_mul_f32 v9, v5, v23 :: v_dual_mul_f32 v5, v5, -v22
	v_dual_fmac_f32 v39, v41, v35 :: v_dual_fmac_f32 v38, v19, v34
	ds_load_2addr_stride64_b64 v[18:21], v18 offset0:4 offset1:8
	v_fmac_f32_e32 v5, v23, v4
	s_wait_dscnt 0x0
	s_barrier_signal -1
	v_dual_fma_f32 v32, -v32, v38, v36 :: v_dual_mul_f32 v36, v13, -v24
	v_mul_f32_e32 v13, v13, v25
	s_barrier_wait -1
	s_delay_alu instid0(VALU_DEP_2) | instskip(NEXT) | instid1(VALU_DEP_2)
	v_div_fmas_f32 v32, v32, v34, v38
	v_dual_fmac_f32 v36, v25, v12 :: v_dual_fmac_f32 v13, v24, v12
	v_fma_f32 v33, -v33, v39, v37
	s_mov_b32 vcc_lo, s0
	s_delay_alu instid0(VALU_DEP_3) | instskip(SKIP_1) | instid1(VALU_DEP_3)
	v_div_fixup_f32 v23, v32, v30, 1.0
	v_fmac_f32_e32 v9, v22, v4
	v_div_fmas_f32 v33, v33, v35, v39
	s_delay_alu instid0(VALU_DEP_2) | instskip(NEXT) | instid1(VALU_DEP_2)
	v_dual_mul_f32 v4, v5, v23 :: v_dual_mul_f32 v22, v23, v9
	v_div_fixup_f32 v32, v33, v31, 1.0
	s_delay_alu instid0(VALU_DEP_2) | instskip(SKIP_2) | instid1(VALU_DEP_4)
	v_pk_mul_f32 v[24:25], v[4:5], v[14:15] op_sel:[0,1] op_sel_hi:[0,0] neg_lo:[0,1]
	v_pk_mul_f32 v[30:31], v[4:5], v[16:17] op_sel:[0,1] op_sel_hi:[0,0] neg_lo:[0,1]
	v_pk_mul_f32 v[4:5], v[4:5], v[2:3] op_sel:[0,1] op_sel_hi:[0,0] neg_hi:[0,1]
	v_mul_f32_e32 v12, v36, v32
	v_mul_f32_e32 v32, v32, v13
	v_pk_fma_f32 v[14:15], v[14:15], v[22:23], v[24:25] op_sel_hi:[1,0,1]
	v_pk_fma_f32 v[16:17], v[16:17], v[22:23], v[30:31] op_sel_hi:[1,0,1]
	v_pk_fma_f32 v[2:3], v[2:3], v[22:23], v[4:5] op_sel_hi:[1,0,1] neg_lo:[1,0,0] neg_hi:[1,0,0]
	v_pk_mul_f32 v[34:35], v[12:13], v[10:11] op_sel:[0,1] op_sel_hi:[0,0] neg_lo:[0,1]
	v_pk_mul_f32 v[36:37], v[12:13], v[20:21] op_sel:[0,1] op_sel_hi:[0,0] neg_lo:[0,1]
	v_pk_add_f32 v[14:15], v[26:27], v[14:15] neg_lo:[0,1] neg_hi:[0,1]
	v_pk_add_f32 v[16:17], v[28:29], v[16:17] neg_lo:[0,1] neg_hi:[0,1]
	v_pk_mul_f32 v[12:13], v[12:13], v[18:19] op_sel:[0,1] op_sel_hi:[0,0] neg_hi:[0,1]
	v_pk_fma_f32 v[10:11], v[10:11], v[32:33], v[34:35] op_sel_hi:[1,0,1]
	v_pk_fma_f32 v[20:21], v[20:21], v[32:33], v[36:37] op_sel_hi:[1,0,1]
	s_delay_alu instid0(VALU_DEP_3) | instskip(NEXT) | instid1(VALU_DEP_3)
	v_pk_fma_f32 v[4:5], v[18:19], v[32:33], v[12:13] op_sel_hi:[1,0,1] neg_lo:[1,0,0] neg_hi:[1,0,0]
	v_pk_add_f32 v[10:11], v[14:15], v[10:11] neg_lo:[0,1] neg_hi:[0,1]
	s_delay_alu instid0(VALU_DEP_3)
	v_pk_add_f32 v[14:15], v[16:17], v[20:21] neg_lo:[0,1] neg_hi:[0,1]
	ds_store_b64 v6, v[10:11]
	ds_store_b64 v8, v[14:15] offset:4096
	ds_store_b64 v8, v[2:3]
	ds_store_b64 v7, v[4:5]
	s_wait_dscnt 0x0
	s_barrier_signal -1
	s_barrier_wait -1
	ds_load_2addr_stride64_b64 v[2:5], v40 offset1:2
	ds_load_2addr_stride64_b64 v[10:13], v42 offset1:2
	ds_load_b64 v[22:23], v8
	ds_load_b64 v[24:25], v7
	s_wait_dscnt 0x2
	v_mul_f32_e32 v30, v13, v13
	s_delay_alu instid0(VALU_DEP_1) | instskip(NEXT) | instid1(VALU_DEP_1)
	v_dual_mul_f32 v9, v5, v5 :: v_dual_fmac_f32 v30, v12, v12
	v_fmac_f32_e32 v9, v4, v4
	s_delay_alu instid0(VALU_DEP_2) | instskip(NEXT) | instid1(VALU_DEP_2)
	v_div_scale_f32 v32, null, v30, v30, 1.0
	v_div_scale_f32 v31, null, v9, v9, 1.0
	v_div_scale_f32 v35, vcc_lo, 1.0, v9, 1.0
	s_delay_alu instid0(VALU_DEP_3) | instskip(NEXT) | instid1(VALU_DEP_2)
	v_rcp_f32_e32 v34, v32
	v_rcp_f32_e32 v33, v31
	v_div_scale_f32 v36, s0, 1.0, v30, 1.0
	s_delay_alu instid0(TRANS32_DEP_2) | instskip(NEXT) | instid1(TRANS32_DEP_1)
	v_fma_f32 v15, -v32, v34, 1.0
	v_fma_f32 v14, -v31, v33, 1.0
	s_delay_alu instid0(VALU_DEP_1) | instskip(SKIP_2) | instid1(VALU_DEP_3)
	v_dual_fmac_f32 v34, v15, v34 :: v_dual_fmac_f32 v33, v14, v33
	v_sub_nc_u32_e64 v14, v0, 4 clamp
	v_add_min_i32_e64 v15, v0, 4, s1
	v_dual_mul_f32 v38, v36, v34 :: v_dual_mul_f32 v37, v35, v33
	s_delay_alu instid0(VALU_DEP_2)
	v_dual_lshlrev_b32 v39, 3, v14 :: v_dual_lshlrev_b32 v41, 3, v15
	ds_load_2addr_stride64_b64 v[14:17], v40 offset0:4 offset1:8
	v_dual_fma_f32 v40, -v32, v38, v36 :: v_dual_fma_f32 v18, -v31, v37, v35
	ds_load_b64 v[26:27], v6
	ds_load_b64 v[28:29], v8 offset:4096
	v_dual_fmac_f32 v38, v40, v34 :: v_dual_fmac_f32 v37, v18, v33
	s_wait_dscnt 0x4
	v_dual_mul_f32 v40, v5, v23 :: v_dual_mul_f32 v5, v5, -v22
	ds_load_2addr_stride64_b64 v[18:21], v42 offset0:4 offset1:8
	v_dual_fma_f32 v32, -v32, v38, v36 :: v_dual_fma_f32 v31, -v31, v37, v35
	s_wait_dscnt 0x4
	v_mul_f32_e64 v35, v13, -v24
	v_dual_fmac_f32 v5, v23, v4 :: v_dual_mul_f32 v13, v13, v25
	v_fmac_f32_e32 v40, v22, v4
	v_div_fmas_f32 v31, v31, v33, v37
	s_mov_b32 vcc_lo, s0
	s_delay_alu instid0(VALU_DEP_3) | instskip(SKIP_1) | instid1(VALU_DEP_3)
	v_dual_fmac_f32 v35, v25, v12 :: v_dual_fmac_f32 v13, v24, v12
	v_div_fmas_f32 v32, v32, v34, v38
	v_div_fixup_f32 v9, v31, v9, 1.0
	s_wait_dscnt 0x0
	s_barrier_signal -1
	s_barrier_wait -1
	v_div_fixup_f32 v23, v32, v30, 1.0
	v_mul_f32_e32 v4, v5, v9
	v_mul_f32_e32 v22, v9, v40
	s_delay_alu instid0(VALU_DEP_3) | instskip(NEXT) | instid1(VALU_DEP_3)
	v_mul_f32_e32 v12, v35, v23
	v_pk_mul_f32 v[24:25], v[4:5], v[14:15] op_sel:[0,1] op_sel_hi:[0,0] neg_lo:[0,1]
	v_pk_mul_f32 v[30:31], v[4:5], v[16:17] op_sel:[0,1] op_sel_hi:[0,0] neg_lo:[0,1]
	v_mul_f32_e32 v32, v23, v13
	v_pk_mul_f32 v[4:5], v[4:5], v[2:3] op_sel:[0,1] op_sel_hi:[0,0] neg_hi:[0,1]
	v_pk_mul_f32 v[34:35], v[12:13], v[10:11] op_sel:[0,1] op_sel_hi:[0,0] neg_lo:[0,1]
	v_pk_fma_f32 v[14:15], v[14:15], v[22:23], v[24:25] op_sel_hi:[1,0,1]
	v_pk_mul_f32 v[36:37], v[12:13], v[20:21] op_sel:[0,1] op_sel_hi:[0,0] neg_lo:[0,1]
	v_pk_fma_f32 v[16:17], v[16:17], v[22:23], v[30:31] op_sel_hi:[1,0,1]
	v_pk_mul_f32 v[12:13], v[12:13], v[18:19] op_sel:[0,1] op_sel_hi:[0,0] neg_hi:[0,1]
	v_pk_fma_f32 v[10:11], v[10:11], v[32:33], v[34:35] op_sel_hi:[1,0,1]
	v_pk_add_f32 v[14:15], v[26:27], v[14:15] neg_lo:[0,1] neg_hi:[0,1]
	v_pk_fma_f32 v[20:21], v[20:21], v[32:33], v[36:37] op_sel_hi:[1,0,1]
	v_pk_add_f32 v[16:17], v[28:29], v[16:17] neg_lo:[0,1] neg_hi:[0,1]
	v_pk_fma_f32 v[2:3], v[2:3], v[22:23], v[4:5] op_sel_hi:[1,0,1] neg_lo:[1,0,0] neg_hi:[1,0,0]
	v_pk_fma_f32 v[4:5], v[18:19], v[32:33], v[12:13] op_sel_hi:[1,0,1] neg_lo:[1,0,0] neg_hi:[1,0,0]
	v_pk_add_f32 v[10:11], v[14:15], v[10:11] neg_lo:[0,1] neg_hi:[0,1]
	s_delay_alu instid0(VALU_DEP_4)
	v_pk_add_f32 v[14:15], v[16:17], v[20:21] neg_lo:[0,1] neg_hi:[0,1]
	ds_store_b64 v6, v[10:11]
	ds_store_b64 v8, v[14:15] offset:4096
	ds_store_b64 v8, v[2:3]
	ds_store_b64 v7, v[4:5]
	s_wait_dscnt 0x0
	s_barrier_signal -1
	s_barrier_wait -1
	ds_load_2addr_stride64_b64 v[2:5], v39 offset1:2
	ds_load_2addr_stride64_b64 v[10:13], v41 offset1:2
	ds_load_b64 v[22:23], v8
	ds_load_b64 v[24:25], v7
	s_wait_dscnt 0x2
	v_mul_f32_e32 v30, v13, v13
	s_delay_alu instid0(VALU_DEP_1) | instskip(NEXT) | instid1(VALU_DEP_1)
	v_dual_mul_f32 v9, v5, v5 :: v_dual_fmac_f32 v30, v12, v12
	v_fmac_f32_e32 v9, v4, v4
	s_delay_alu instid0(VALU_DEP_2) | instskip(NEXT) | instid1(VALU_DEP_2)
	v_div_scale_f32 v32, null, v30, v30, 1.0
	v_div_scale_f32 v31, null, v9, v9, 1.0
	v_div_scale_f32 v35, vcc_lo, 1.0, v9, 1.0
	s_delay_alu instid0(VALU_DEP_3) | instskip(NEXT) | instid1(VALU_DEP_2)
	v_rcp_f32_e32 v34, v32
	v_rcp_f32_e32 v33, v31
	v_div_scale_f32 v36, s0, 1.0, v30, 1.0
	s_delay_alu instid0(TRANS32_DEP_2) | instskip(NEXT) | instid1(TRANS32_DEP_1)
	v_fma_f32 v15, -v32, v34, 1.0
	v_fma_f32 v14, -v31, v33, 1.0
	s_delay_alu instid0(VALU_DEP_1) | instskip(SKIP_2) | instid1(VALU_DEP_3)
	v_dual_fmac_f32 v34, v15, v34 :: v_dual_fmac_f32 v33, v14, v33
	v_sub_nc_u32_e64 v14, v0, 8 clamp
	v_add_min_i32_e64 v15, v0, 8, s1
	v_dual_mul_f32 v38, v36, v34 :: v_dual_mul_f32 v37, v35, v33
	s_delay_alu instid0(VALU_DEP_2)
	v_dual_lshlrev_b32 v40, 3, v14 :: v_dual_lshlrev_b32 v42, 3, v15
	ds_load_2addr_stride64_b64 v[14:17], v39 offset0:4 offset1:8
	v_dual_fma_f32 v39, -v32, v38, v36 :: v_dual_fma_f32 v18, -v31, v37, v35
	ds_load_b64 v[26:27], v6
	ds_load_b64 v[28:29], v8 offset:4096
	v_dual_fmac_f32 v38, v39, v34 :: v_dual_fmac_f32 v37, v18, v33
	s_wait_dscnt 0x4
	v_dual_mul_f32 v39, v5, v23 :: v_dual_mul_f32 v5, v5, -v22
	ds_load_2addr_stride64_b64 v[18:21], v41 offset0:4 offset1:8
	v_dual_fma_f32 v32, -v32, v38, v36 :: v_dual_fma_f32 v31, -v31, v37, v35
	s_wait_dscnt 0x4
	v_mul_f32_e64 v35, v13, -v24
	v_dual_fmac_f32 v5, v23, v4 :: v_dual_mul_f32 v13, v13, v25
	v_fmac_f32_e32 v39, v22, v4
	v_div_fmas_f32 v31, v31, v33, v37
	s_mov_b32 vcc_lo, s0
	s_delay_alu instid0(VALU_DEP_3) | instskip(SKIP_1) | instid1(VALU_DEP_3)
	v_dual_fmac_f32 v35, v25, v12 :: v_dual_fmac_f32 v13, v24, v12
	v_div_fmas_f32 v32, v32, v34, v38
	v_div_fixup_f32 v9, v31, v9, 1.0
	s_wait_dscnt 0x0
	s_barrier_signal -1
	s_barrier_wait -1
	v_div_fixup_f32 v23, v32, v30, 1.0
	v_mul_f32_e32 v4, v5, v9
	v_mul_f32_e32 v22, v9, v39
	s_delay_alu instid0(VALU_DEP_3) | instskip(NEXT) | instid1(VALU_DEP_3)
	v_mul_f32_e32 v12, v35, v23
	v_pk_mul_f32 v[24:25], v[4:5], v[14:15] op_sel:[0,1] op_sel_hi:[0,0] neg_lo:[0,1]
	v_pk_mul_f32 v[30:31], v[4:5], v[16:17] op_sel:[0,1] op_sel_hi:[0,0] neg_lo:[0,1]
	v_mul_f32_e32 v32, v23, v13
	v_pk_mul_f32 v[4:5], v[4:5], v[2:3] op_sel:[0,1] op_sel_hi:[0,0] neg_hi:[0,1]
	v_pk_mul_f32 v[34:35], v[12:13], v[10:11] op_sel:[0,1] op_sel_hi:[0,0] neg_lo:[0,1]
	v_pk_fma_f32 v[14:15], v[14:15], v[22:23], v[24:25] op_sel_hi:[1,0,1]
	v_pk_mul_f32 v[36:37], v[12:13], v[20:21] op_sel:[0,1] op_sel_hi:[0,0] neg_lo:[0,1]
	v_pk_fma_f32 v[16:17], v[16:17], v[22:23], v[30:31] op_sel_hi:[1,0,1]
	v_pk_mul_f32 v[12:13], v[12:13], v[18:19] op_sel:[0,1] op_sel_hi:[0,0] neg_hi:[0,1]
	v_pk_fma_f32 v[10:11], v[10:11], v[32:33], v[34:35] op_sel_hi:[1,0,1]
	v_pk_add_f32 v[14:15], v[26:27], v[14:15] neg_lo:[0,1] neg_hi:[0,1]
	v_pk_fma_f32 v[20:21], v[20:21], v[32:33], v[36:37] op_sel_hi:[1,0,1]
	v_pk_add_f32 v[16:17], v[28:29], v[16:17] neg_lo:[0,1] neg_hi:[0,1]
	v_pk_fma_f32 v[2:3], v[2:3], v[22:23], v[4:5] op_sel_hi:[1,0,1] neg_lo:[1,0,0] neg_hi:[1,0,0]
	v_pk_fma_f32 v[4:5], v[18:19], v[32:33], v[12:13] op_sel_hi:[1,0,1] neg_lo:[1,0,0] neg_hi:[1,0,0]
	v_pk_add_f32 v[10:11], v[14:15], v[10:11] neg_lo:[0,1] neg_hi:[0,1]
	s_delay_alu instid0(VALU_DEP_4)
	v_pk_add_f32 v[14:15], v[16:17], v[20:21] neg_lo:[0,1] neg_hi:[0,1]
	ds_store_b64 v6, v[10:11]
	ds_store_b64 v8, v[14:15] offset:4096
	ds_store_b64 v8, v[2:3]
	ds_store_b64 v7, v[4:5]
	s_wait_dscnt 0x0
	s_barrier_signal -1
	s_barrier_wait -1
	ds_load_2addr_stride64_b64 v[2:5], v40 offset1:2
	ds_load_2addr_stride64_b64 v[10:13], v42 offset1:2
	ds_load_b64 v[22:23], v8
	ds_load_b64 v[24:25], v7
	s_wait_dscnt 0x2
	v_mul_f32_e32 v30, v13, v13
	s_delay_alu instid0(VALU_DEP_1) | instskip(NEXT) | instid1(VALU_DEP_1)
	v_dual_mul_f32 v9, v5, v5 :: v_dual_fmac_f32 v30, v12, v12
	v_fmac_f32_e32 v9, v4, v4
	s_delay_alu instid0(VALU_DEP_2) | instskip(NEXT) | instid1(VALU_DEP_2)
	v_div_scale_f32 v32, null, v30, v30, 1.0
	v_div_scale_f32 v31, null, v9, v9, 1.0
	v_div_scale_f32 v35, vcc_lo, 1.0, v9, 1.0
	s_delay_alu instid0(VALU_DEP_3) | instskip(NEXT) | instid1(VALU_DEP_2)
	v_rcp_f32_e32 v34, v32
	v_rcp_f32_e32 v33, v31
	v_div_scale_f32 v36, s0, 1.0, v30, 1.0
	s_delay_alu instid0(TRANS32_DEP_2) | instskip(NEXT) | instid1(TRANS32_DEP_1)
	v_fma_f32 v15, -v32, v34, 1.0
	v_fma_f32 v14, -v31, v33, 1.0
	s_delay_alu instid0(VALU_DEP_1) | instskip(SKIP_2) | instid1(VALU_DEP_3)
	v_dual_fmac_f32 v34, v15, v34 :: v_dual_fmac_f32 v33, v14, v33
	v_sub_nc_u32_e64 v14, v0, 16 clamp
	v_add_min_i32_e64 v15, v0, 16, s1
	v_dual_mul_f32 v38, v36, v34 :: v_dual_mul_f32 v37, v35, v33
	s_delay_alu instid0(VALU_DEP_2)
	v_dual_lshlrev_b32 v39, 3, v14 :: v_dual_lshlrev_b32 v41, 3, v15
	ds_load_2addr_stride64_b64 v[14:17], v40 offset0:4 offset1:8
	v_dual_fma_f32 v40, -v32, v38, v36 :: v_dual_fma_f32 v18, -v31, v37, v35
	ds_load_b64 v[26:27], v6
	ds_load_b64 v[28:29], v8 offset:4096
	v_dual_fmac_f32 v38, v40, v34 :: v_dual_fmac_f32 v37, v18, v33
	s_wait_dscnt 0x4
	v_dual_mul_f32 v40, v5, v23 :: v_dual_mul_f32 v5, v5, -v22
	ds_load_2addr_stride64_b64 v[18:21], v42 offset0:4 offset1:8
	v_dual_fma_f32 v32, -v32, v38, v36 :: v_dual_fma_f32 v31, -v31, v37, v35
	s_wait_dscnt 0x4
	v_mul_f32_e64 v35, v13, -v24
	v_dual_fmac_f32 v5, v23, v4 :: v_dual_mul_f32 v13, v13, v25
	v_fmac_f32_e32 v40, v22, v4
	v_div_fmas_f32 v31, v31, v33, v37
	s_mov_b32 vcc_lo, s0
	s_delay_alu instid0(VALU_DEP_3) | instskip(SKIP_1) | instid1(VALU_DEP_3)
	v_dual_fmac_f32 v35, v25, v12 :: v_dual_fmac_f32 v13, v24, v12
	v_div_fmas_f32 v32, v32, v34, v38
	v_div_fixup_f32 v9, v31, v9, 1.0
	s_wait_dscnt 0x0
	s_barrier_signal -1
	s_barrier_wait -1
	v_div_fixup_f32 v23, v32, v30, 1.0
	v_mul_f32_e32 v4, v5, v9
	v_mul_f32_e32 v22, v9, v40
	s_delay_alu instid0(VALU_DEP_3) | instskip(NEXT) | instid1(VALU_DEP_3)
	v_mul_f32_e32 v12, v35, v23
	v_pk_mul_f32 v[24:25], v[4:5], v[14:15] op_sel:[0,1] op_sel_hi:[0,0] neg_lo:[0,1]
	v_pk_mul_f32 v[30:31], v[4:5], v[16:17] op_sel:[0,1] op_sel_hi:[0,0] neg_lo:[0,1]
	v_mul_f32_e32 v32, v23, v13
	v_pk_mul_f32 v[4:5], v[4:5], v[2:3] op_sel:[0,1] op_sel_hi:[0,0] neg_hi:[0,1]
	v_pk_mul_f32 v[34:35], v[12:13], v[10:11] op_sel:[0,1] op_sel_hi:[0,0] neg_lo:[0,1]
	v_pk_fma_f32 v[14:15], v[14:15], v[22:23], v[24:25] op_sel_hi:[1,0,1]
	v_pk_mul_f32 v[36:37], v[12:13], v[20:21] op_sel:[0,1] op_sel_hi:[0,0] neg_lo:[0,1]
	v_pk_fma_f32 v[16:17], v[16:17], v[22:23], v[30:31] op_sel_hi:[1,0,1]
	v_pk_mul_f32 v[12:13], v[12:13], v[18:19] op_sel:[0,1] op_sel_hi:[0,0] neg_hi:[0,1]
	v_pk_fma_f32 v[10:11], v[10:11], v[32:33], v[34:35] op_sel_hi:[1,0,1]
	v_pk_add_f32 v[14:15], v[26:27], v[14:15] neg_lo:[0,1] neg_hi:[0,1]
	v_pk_fma_f32 v[20:21], v[20:21], v[32:33], v[36:37] op_sel_hi:[1,0,1]
	v_pk_add_f32 v[16:17], v[28:29], v[16:17] neg_lo:[0,1] neg_hi:[0,1]
	v_pk_fma_f32 v[2:3], v[2:3], v[22:23], v[4:5] op_sel_hi:[1,0,1] neg_lo:[1,0,0] neg_hi:[1,0,0]
	v_pk_fma_f32 v[4:5], v[18:19], v[32:33], v[12:13] op_sel_hi:[1,0,1] neg_lo:[1,0,0] neg_hi:[1,0,0]
	v_pk_add_f32 v[10:11], v[14:15], v[10:11] neg_lo:[0,1] neg_hi:[0,1]
	s_delay_alu instid0(VALU_DEP_4)
	v_pk_add_f32 v[14:15], v[16:17], v[20:21] neg_lo:[0,1] neg_hi:[0,1]
	ds_store_b64 v6, v[10:11]
	ds_store_b64 v8, v[14:15] offset:4096
	ds_store_b64 v8, v[2:3]
	ds_store_b64 v7, v[4:5]
	s_wait_dscnt 0x0
	s_barrier_signal -1
	s_barrier_wait -1
	ds_load_2addr_stride64_b64 v[2:5], v39 offset1:2
	ds_load_2addr_stride64_b64 v[10:13], v41 offset1:2
	ds_load_b64 v[22:23], v8
	ds_load_b64 v[24:25], v7
	s_wait_dscnt 0x2
	v_mul_f32_e32 v30, v13, v13
	s_delay_alu instid0(VALU_DEP_1) | instskip(NEXT) | instid1(VALU_DEP_1)
	v_dual_mul_f32 v9, v5, v5 :: v_dual_fmac_f32 v30, v12, v12
	v_fmac_f32_e32 v9, v4, v4
	s_delay_alu instid0(VALU_DEP_2) | instskip(NEXT) | instid1(VALU_DEP_2)
	v_div_scale_f32 v32, null, v30, v30, 1.0
	v_div_scale_f32 v31, null, v9, v9, 1.0
	v_div_scale_f32 v35, vcc_lo, 1.0, v9, 1.0
	s_delay_alu instid0(VALU_DEP_3) | instskip(NEXT) | instid1(VALU_DEP_2)
	v_rcp_f32_e32 v34, v32
	v_rcp_f32_e32 v33, v31
	v_div_scale_f32 v36, s0, 1.0, v30, 1.0
	s_delay_alu instid0(TRANS32_DEP_2) | instskip(NEXT) | instid1(TRANS32_DEP_1)
	v_fma_f32 v15, -v32, v34, 1.0
	v_fma_f32 v14, -v31, v33, 1.0
	s_delay_alu instid0(VALU_DEP_1) | instskip(SKIP_3) | instid1(VALU_DEP_4)
	v_dual_fmac_f32 v34, v15, v34 :: v_dual_fmac_f32 v33, v14, v33
	v_sub_nc_u32_e64 v14, v0, 32 clamp
	v_add_min_i32_e64 v15, v0, 32, s1
	v_cmp_gt_u32_e64 s1, 64, v0
	v_dual_mul_f32 v38, v36, v34 :: v_dual_mul_f32 v37, v35, v33
	s_delay_alu instid0(VALU_DEP_3)
	v_dual_lshlrev_b32 v40, 3, v14 :: v_dual_lshlrev_b32 v42, 3, v15
	ds_load_2addr_stride64_b64 v[14:17], v39 offset0:4 offset1:8
	v_dual_fma_f32 v39, -v32, v38, v36 :: v_dual_fma_f32 v18, -v31, v37, v35
	ds_load_b64 v[26:27], v6
	ds_load_b64 v[28:29], v8 offset:4096
	v_dual_fmac_f32 v38, v39, v34 :: v_dual_fmac_f32 v37, v18, v33
	s_wait_dscnt 0x4
	v_dual_mul_f32 v39, v5, v23 :: v_dual_mul_f32 v5, v5, -v22
	ds_load_2addr_stride64_b64 v[18:21], v41 offset0:4 offset1:8
	v_dual_fma_f32 v32, -v32, v38, v36 :: v_dual_fma_f32 v31, -v31, v37, v35
	s_wait_dscnt 0x4
	v_mul_f32_e64 v35, v13, -v24
	v_dual_fmac_f32 v5, v23, v4 :: v_dual_mul_f32 v13, v13, v25
	v_fmac_f32_e32 v39, v22, v4
	v_div_fmas_f32 v31, v31, v33, v37
	s_mov_b32 vcc_lo, s0
	s_delay_alu instid0(VALU_DEP_3) | instskip(SKIP_1) | instid1(VALU_DEP_3)
	v_dual_fmac_f32 v35, v25, v12 :: v_dual_fmac_f32 v13, v24, v12
	v_div_fmas_f32 v32, v32, v34, v38
	v_div_fixup_f32 v9, v31, v9, 1.0
	s_wait_dscnt 0x0
	s_barrier_signal -1
	s_barrier_wait -1
	v_div_fixup_f32 v23, v32, v30, 1.0
	v_mul_f32_e32 v4, v5, v9
	v_mul_f32_e32 v22, v9, v39
	s_delay_alu instid0(VALU_DEP_3) | instskip(NEXT) | instid1(VALU_DEP_3)
	v_mul_f32_e32 v12, v35, v23
	v_pk_mul_f32 v[24:25], v[4:5], v[14:15] op_sel:[0,1] op_sel_hi:[0,0] neg_lo:[0,1]
	v_pk_mul_f32 v[30:31], v[4:5], v[16:17] op_sel:[0,1] op_sel_hi:[0,0] neg_lo:[0,1]
	v_mul_f32_e32 v32, v23, v13
	v_pk_mul_f32 v[4:5], v[4:5], v[2:3] op_sel:[0,1] op_sel_hi:[0,0] neg_hi:[0,1]
	v_pk_mul_f32 v[34:35], v[12:13], v[10:11] op_sel:[0,1] op_sel_hi:[0,0] neg_lo:[0,1]
	v_pk_fma_f32 v[14:15], v[14:15], v[22:23], v[24:25] op_sel_hi:[1,0,1]
	v_pk_mul_f32 v[36:37], v[12:13], v[20:21] op_sel:[0,1] op_sel_hi:[0,0] neg_lo:[0,1]
	v_pk_fma_f32 v[16:17], v[16:17], v[22:23], v[30:31] op_sel_hi:[1,0,1]
	v_pk_mul_f32 v[12:13], v[12:13], v[18:19] op_sel:[0,1] op_sel_hi:[0,0] neg_hi:[0,1]
	v_pk_fma_f32 v[10:11], v[10:11], v[32:33], v[34:35] op_sel_hi:[1,0,1]
	v_pk_add_f32 v[14:15], v[26:27], v[14:15] neg_lo:[0,1] neg_hi:[0,1]
	v_pk_fma_f32 v[20:21], v[20:21], v[32:33], v[36:37] op_sel_hi:[1,0,1]
	v_pk_add_f32 v[16:17], v[28:29], v[16:17] neg_lo:[0,1] neg_hi:[0,1]
	v_pk_fma_f32 v[2:3], v[2:3], v[22:23], v[4:5] op_sel_hi:[1,0,1] neg_lo:[1,0,0] neg_hi:[1,0,0]
	v_pk_fma_f32 v[4:5], v[18:19], v[32:33], v[12:13] op_sel_hi:[1,0,1] neg_lo:[1,0,0] neg_hi:[1,0,0]
	v_pk_add_f32 v[10:11], v[14:15], v[10:11] neg_lo:[0,1] neg_hi:[0,1]
	s_delay_alu instid0(VALU_DEP_4)
	v_pk_add_f32 v[14:15], v[16:17], v[20:21] neg_lo:[0,1] neg_hi:[0,1]
	ds_store_b64 v6, v[10:11]
	ds_store_b64 v8, v[14:15] offset:4096
	ds_store_b64 v8, v[2:3]
	ds_store_b64 v7, v[4:5]
	s_wait_dscnt 0x0
	s_barrier_signal -1
	s_barrier_wait -1
	ds_load_2addr_stride64_b64 v[2:5], v40 offset1:2
	ds_load_2addr_stride64_b64 v[10:13], v42 offset1:2
	ds_load_b64 v[22:23], v8
	ds_load_b64 v[24:25], v7
	s_wait_dscnt 0x2
	v_mul_f32_e32 v30, v13, v13
	s_delay_alu instid0(VALU_DEP_1) | instskip(NEXT) | instid1(VALU_DEP_1)
	v_dual_mul_f32 v9, v5, v5 :: v_dual_fmac_f32 v30, v12, v12
	v_fmac_f32_e32 v9, v4, v4
	s_delay_alu instid0(VALU_DEP_2) | instskip(NEXT) | instid1(VALU_DEP_2)
	v_div_scale_f32 v32, null, v30, v30, 1.0
	v_div_scale_f32 v31, null, v9, v9, 1.0
	v_div_scale_f32 v35, vcc_lo, 1.0, v9, 1.0
	s_delay_alu instid0(VALU_DEP_3) | instskip(NEXT) | instid1(VALU_DEP_2)
	v_rcp_f32_e32 v34, v32
	v_rcp_f32_e32 v33, v31
	v_div_scale_f32 v36, s0, 1.0, v30, 1.0
	s_delay_alu instid0(TRANS32_DEP_2) | instskip(NEXT) | instid1(TRANS32_DEP_1)
	v_fma_f32 v15, -v32, v34, 1.0
	v_fma_f32 v14, -v31, v33, 1.0
	s_delay_alu instid0(VALU_DEP_1) | instskip(SKIP_4) | instid1(VALU_DEP_1)
	v_dual_fmac_f32 v34, v15, v34 :: v_dual_fmac_f32 v33, v14, v33
	ds_load_2addr_stride64_b64 v[14:17], v40 offset0:4 offset1:8
	ds_load_b64 v[26:27], v6
	ds_load_b64 v[28:29], v8 offset:4096
	v_dual_mul_f32 v38, v36, v34 :: v_dual_mul_f32 v37, v35, v33
	v_dual_fma_f32 v39, -v32, v38, v36 :: v_dual_fma_f32 v18, -v31, v37, v35
	s_delay_alu instid0(VALU_DEP_1)
	v_dual_fmac_f32 v38, v39, v34 :: v_dual_fmac_f32 v37, v18, v33
	s_wait_dscnt 0x4
	v_dual_mul_f32 v39, v5, v23 :: v_dual_mul_f32 v5, v5, -v22
	ds_load_2addr_stride64_b64 v[18:21], v42 offset0:4 offset1:8
	v_dual_fma_f32 v32, -v32, v38, v36 :: v_dual_fma_f32 v31, -v31, v37, v35
	s_wait_dscnt 0x4
	v_mul_f32_e64 v35, v13, -v24
	v_dual_fmac_f32 v5, v23, v4 :: v_dual_mul_f32 v13, v13, v25
	v_fmac_f32_e32 v39, v22, v4
	v_div_fmas_f32 v31, v31, v33, v37
	s_mov_b32 vcc_lo, s0
	s_delay_alu instid0(VALU_DEP_3) | instskip(SKIP_1) | instid1(VALU_DEP_3)
	v_dual_fmac_f32 v35, v25, v12 :: v_dual_fmac_f32 v13, v24, v12
	v_div_fmas_f32 v32, v32, v34, v38
	v_div_fixup_f32 v9, v31, v9, 1.0
	s_wait_dscnt 0x0
	s_barrier_signal -1
	s_barrier_wait -1
	v_div_fixup_f32 v23, v32, v30, 1.0
	v_mul_f32_e32 v4, v5, v9
	v_mul_f32_e32 v22, v9, v39
	s_delay_alu instid0(VALU_DEP_3) | instskip(NEXT) | instid1(VALU_DEP_3)
	v_mul_f32_e32 v12, v35, v23
	v_pk_mul_f32 v[24:25], v[4:5], v[14:15] op_sel:[0,1] op_sel_hi:[0,0] neg_lo:[0,1]
	v_pk_mul_f32 v[30:31], v[4:5], v[16:17] op_sel:[0,1] op_sel_hi:[0,0] neg_lo:[0,1]
	v_mul_f32_e32 v32, v23, v13
	v_pk_mul_f32 v[4:5], v[4:5], v[2:3] op_sel:[0,1] op_sel_hi:[0,0] neg_hi:[0,1]
	v_pk_mul_f32 v[34:35], v[12:13], v[10:11] op_sel:[0,1] op_sel_hi:[0,0] neg_lo:[0,1]
	v_pk_fma_f32 v[14:15], v[14:15], v[22:23], v[24:25] op_sel_hi:[1,0,1]
	v_pk_mul_f32 v[36:37], v[12:13], v[20:21] op_sel:[0,1] op_sel_hi:[0,0] neg_lo:[0,1]
	v_pk_fma_f32 v[16:17], v[16:17], v[22:23], v[30:31] op_sel_hi:[1,0,1]
	v_pk_mul_f32 v[12:13], v[12:13], v[18:19] op_sel:[0,1] op_sel_hi:[0,0] neg_hi:[0,1]
	v_pk_fma_f32 v[10:11], v[10:11], v[32:33], v[34:35] op_sel_hi:[1,0,1]
	v_pk_add_f32 v[14:15], v[26:27], v[14:15] neg_lo:[0,1] neg_hi:[0,1]
	v_pk_fma_f32 v[20:21], v[20:21], v[32:33], v[36:37] op_sel_hi:[1,0,1]
	v_pk_add_f32 v[16:17], v[28:29], v[16:17] neg_lo:[0,1] neg_hi:[0,1]
	v_pk_fma_f32 v[2:3], v[2:3], v[22:23], v[4:5] op_sel_hi:[1,0,1] neg_lo:[1,0,0] neg_hi:[1,0,0]
	v_pk_fma_f32 v[4:5], v[18:19], v[32:33], v[12:13] op_sel_hi:[1,0,1] neg_lo:[1,0,0] neg_hi:[1,0,0]
	v_pk_add_f32 v[10:11], v[14:15], v[10:11] neg_lo:[0,1] neg_hi:[0,1]
	s_delay_alu instid0(VALU_DEP_4)
	v_pk_add_f32 v[14:15], v[16:17], v[20:21] neg_lo:[0,1] neg_hi:[0,1]
	ds_store_b64 v6, v[10:11]
	ds_store_b64 v8, v[14:15] offset:4096
	ds_store_b64 v8, v[2:3]
	ds_store_b64 v7, v[4:5]
	s_wait_dscnt 0x0
	s_barrier_signal -1
	s_barrier_wait -1
	s_and_saveexec_b32 s0, s1
	s_cbranch_execz .LBB56_14
; %bb.9:
	v_or_b32_e32 v4, 64, v0
	v_or_b32_e32 v5, 0x1000, v8
	s_mov_b32 s1, exec_lo
                                        ; implicit-def: $vgpr2_vgpr3
	s_delay_alu instid0(VALU_DEP_2)
	v_cmpx_le_i32_e64 s3, v4
	s_xor_b32 s1, exec_lo, s1
	s_cbranch_execz .LBB56_11
; %bb.10:
	ds_load_b64 v[2:3], v6
	s_wait_dscnt 0x0
	v_mul_f32_e32 v9, v3, v3
	s_delay_alu instid0(VALU_DEP_1) | instskip(NEXT) | instid1(VALU_DEP_1)
	v_fmac_f32_e32 v9, v2, v2
	v_div_scale_f32 v6, null, v9, v9, 1.0
	s_delay_alu instid0(VALU_DEP_1) | instskip(SKIP_1) | instid1(TRANS32_DEP_1)
	v_rcp_f32_e32 v7, v6
	v_nop
	v_fma_f32 v4, -v6, v7, 1.0
	s_delay_alu instid0(VALU_DEP_1) | instskip(SKIP_3) | instid1(VALU_DEP_1)
	v_fmac_f32_e32 v7, v4, v7
	v_div_scale_f32 v10, vcc_lo, 1.0, v9, 1.0
	ds_load_b64 v[4:5], v5
	v_mul_f32_e32 v11, v10, v7
	v_fma_f32 v12, -v6, v11, v10
	s_delay_alu instid0(VALU_DEP_1) | instskip(NEXT) | instid1(VALU_DEP_1)
	v_fmac_f32_e32 v11, v12, v7
	v_fma_f32 v6, -v6, v11, v10
	s_delay_alu instid0(VALU_DEP_1) | instskip(SKIP_2) | instid1(VALU_DEP_2)
	v_div_fmas_f32 v10, v6, v7, v11
	s_wait_dscnt 0x0
	v_pk_mul_f32 v[6:7], v[2:3], v[4:5] op_sel:[1,1] op_sel_hi:[1,0] neg_hi:[0,1]
	v_div_fixup_f32 v10, v10, v9, 1.0
	s_delay_alu instid0(VALU_DEP_2) | instskip(NEXT) | instid1(VALU_DEP_1)
	v_pk_fma_f32 v[2:3], v[4:5], v[2:3], v[6:7] op_sel_hi:[1,0,1]
                                        ; implicit-def: $vgpr6
                                        ; implicit-def: $vgpr7
                                        ; implicit-def: $vgpr5
                                        ; implicit-def: $vgpr4
	v_pk_mul_f32 v[2:3], v[10:11], v[2:3] op_sel_hi:[0,1]
.LBB56_11:
	s_and_not1_saveexec_b32 s1, s1
	s_cbranch_execz .LBB56_13
; %bb.12:
	ds_load_2addr_stride64_b64 v[10:13], v6 offset1:1
	ds_load_b64 v[2:3], v8 offset:512
	ds_load_b64 v[6:7], v7
	ds_load_b32 v0, v5
	ds_load_b64 v[14:15], v5
	ds_load_b64 v[16:17], v5 offset:512
	s_wait_dscnt 0x5
	v_pk_mul_f32 v[18:19], v[10:11], v[12:13] op_sel:[1,1] op_sel_hi:[1,0] neg_lo:[0,1]
	s_wait_dscnt 0x3
	v_pk_mul_f32 v[20:21], v[2:3], v[6:7] op_sel:[1,1] op_sel_hi:[1,0] neg_lo:[0,1]
	;; [unrolled: 2-line block ×3, first 2 shown]
	v_pk_fma_f32 v[18:19], v[12:13], v[10:11], v[18:19] op_sel_hi:[1,0,1]
	s_delay_alu instid0(VALU_DEP_3) | instskip(NEXT) | instid1(VALU_DEP_3)
	v_pk_fma_f32 v[20:21], v[6:7], v[2:3], v[20:21] op_sel_hi:[1,0,1]
	v_pk_fma_f32 v[2:3], v[14:15], v[2:3], v[28:29] op_sel_hi:[1,0,1]
	s_delay_alu instid0(VALU_DEP_2) | instskip(SKIP_3) | instid1(VALU_DEP_1)
	v_pk_add_f32 v[18:19], v[18:19], v[20:21] neg_lo:[0,1] neg_hi:[0,1]
	ds_load_2addr_b32 v[20:21], v5 offset0:1 offset1:128
	ds_load_b32 v22, v5 offset:516
	v_mul_f32_e32 v9, v19, v19
	v_fmac_f32_e32 v9, v18, v18
	s_wait_dscnt 0x1
	v_pk_mul_f32 v[24:25], v[20:21], v[12:13] op_sel:[0,1] op_sel_hi:[0,0] neg_lo:[0,1]
	v_mov_b32_e32 v20, v21
	s_delay_alu instid0(VALU_DEP_3) | instskip(SKIP_1) | instid1(VALU_DEP_4)
	v_div_scale_f32 v26, null, v9, v9, 1.0
	v_div_scale_f32 v5, vcc_lo, 1.0, v9, 1.0
	v_pk_fma_f32 v[12:13], v[12:13], v[0:1], v[24:25] op_sel_hi:[1,0,1]
	s_delay_alu instid0(VALU_DEP_3) | instskip(SKIP_1) | instid1(TRANS32_DEP_1)
	v_rcp_f32_e32 v30, v26
	v_fma_f32 v0, v18, 0, -v19
	v_fma_f32 v23, -v26, v30, 1.0
	s_delay_alu instid0(VALU_DEP_1) | instskip(NEXT) | instid1(VALU_DEP_1)
	v_fmac_f32_e32 v30, v23, v30
	v_mul_f32_e32 v31, v5, v30
	s_delay_alu instid0(VALU_DEP_1) | instskip(NEXT) | instid1(VALU_DEP_1)
	v_fma_f32 v23, -v26, v31, v5
	v_fmac_f32_e32 v31, v23, v30
	s_wait_dscnt 0x0
	v_pk_mul_f32 v[22:23], v[22:23], v[6:7] op_sel:[0,1] op_sel_hi:[0,0] neg_lo:[0,1]
	s_delay_alu instid0(VALU_DEP_2) | instskip(SKIP_1) | instid1(VALU_DEP_3)
	v_fma_f32 v5, -v26, v31, v5
	v_pk_mul_f32 v[26:27], v[10:11], v[16:17] op_sel:[1,1] op_sel_hi:[1,0] neg_lo:[0,1]
	v_pk_fma_f32 v[6:7], v[6:7], v[20:21], v[22:23] op_sel_hi:[1,0,1]
	s_delay_alu instid0(VALU_DEP_3) | instskip(NEXT) | instid1(VALU_DEP_3)
	v_div_fmas_f32 v5, v5, v30, v31
	v_pk_fma_f32 v[10:11], v[16:17], v[10:11], v[26:27] op_sel_hi:[1,0,1]
	s_delay_alu instid0(VALU_DEP_3) | instskip(NEXT) | instid1(VALU_DEP_3)
	v_pk_add_f32 v[6:7], v[12:13], v[6:7] neg_lo:[0,1] neg_hi:[0,1]
	v_div_fixup_f32 v5, v5, v9, 1.0
	v_fma_f32 v9, 0, v19, v18
	s_delay_alu instid0(VALU_DEP_4) | instskip(NEXT) | instid1(VALU_DEP_2)
	v_pk_add_f32 v[2:3], v[10:11], v[2:3] neg_lo:[0,1] neg_hi:[0,1]
	v_dual_mul_f32 v0, v0, v5 :: v_dual_mul_f32 v10, v9, v5
	s_delay_alu instid0(VALU_DEP_1) | instskip(NEXT) | instid1(VALU_DEP_3)
	v_pk_mul_f32 v[12:13], v[0:1], v[6:7] op_sel:[0,1] op_sel_hi:[0,0] neg_lo:[0,1]
	v_pk_mul_f32 v[14:15], v[0:1], v[2:3] op_sel:[0,1] op_sel_hi:[0,0] neg_lo:[0,1]
	v_mov_b32_e32 v0, v4
	s_delay_alu instid0(VALU_DEP_3) | instskip(NEXT) | instid1(VALU_DEP_3)
	v_pk_fma_f32 v[6:7], v[6:7], v[10:11], v[12:13] op_sel_hi:[1,0,1]
	v_pk_fma_f32 v[2:3], v[2:3], v[10:11], v[14:15] op_sel_hi:[1,0,1]
	ds_store_b64 v8, v[6:7] offset:3072
.LBB56_13:
	s_or_b32 exec_lo, exec_lo, s1
	v_lshlrev_b32_e32 v0, 3, v0
	ds_store_b64 v0, v[2:3] offset:3072
.LBB56_14:
	s_or_b32 exec_lo, exec_lo, s0
	s_wait_dscnt 0x0
	s_barrier_signal -1
	s_barrier_wait -1
	s_and_saveexec_b32 s0, s2
	s_cbranch_execz .LBB56_16
; %bb.15:
	ds_load_b64 v[2:3], v8 offset:3072
	s_wait_dscnt 0x0
	s_wait_kmcnt 0x0
	global_store_b64 v1, v[2:3], s[4:5] scale_offset
.LBB56_16:
	s_endpgm
	.section	.rodata,"a",@progbits
	.p2align	6, 0x0
	.amdhsa_kernel _ZN9rocsparseL44gtsv_nopivot_strided_batch_pcr_shared_kernelILj128E21rocsparse_complex_numIfEEEviiiPKT0_S5_S5_PS3_
		.amdhsa_group_segment_fixed_size 5120
		.amdhsa_private_segment_fixed_size 0
		.amdhsa_kernarg_size 48
		.amdhsa_user_sgpr_count 2
		.amdhsa_user_sgpr_dispatch_ptr 0
		.amdhsa_user_sgpr_queue_ptr 0
		.amdhsa_user_sgpr_kernarg_segment_ptr 1
		.amdhsa_user_sgpr_dispatch_id 0
		.amdhsa_user_sgpr_kernarg_preload_length 0
		.amdhsa_user_sgpr_kernarg_preload_offset 0
		.amdhsa_user_sgpr_private_segment_size 0
		.amdhsa_wavefront_size32 1
		.amdhsa_uses_dynamic_stack 0
		.amdhsa_enable_private_segment 0
		.amdhsa_system_sgpr_workgroup_id_x 1
		.amdhsa_system_sgpr_workgroup_id_y 0
		.amdhsa_system_sgpr_workgroup_id_z 0
		.amdhsa_system_sgpr_workgroup_info 0
		.amdhsa_system_vgpr_workitem_id 0
		.amdhsa_next_free_vgpr 43
		.amdhsa_next_free_sgpr 8
		.amdhsa_named_barrier_count 0
		.amdhsa_reserve_vcc 1
		.amdhsa_float_round_mode_32 0
		.amdhsa_float_round_mode_16_64 0
		.amdhsa_float_denorm_mode_32 3
		.amdhsa_float_denorm_mode_16_64 3
		.amdhsa_fp16_overflow 0
		.amdhsa_memory_ordered 1
		.amdhsa_forward_progress 1
		.amdhsa_inst_pref_size 34
		.amdhsa_round_robin_scheduling 0
		.amdhsa_exception_fp_ieee_invalid_op 0
		.amdhsa_exception_fp_denorm_src 0
		.amdhsa_exception_fp_ieee_div_zero 0
		.amdhsa_exception_fp_ieee_overflow 0
		.amdhsa_exception_fp_ieee_underflow 0
		.amdhsa_exception_fp_ieee_inexact 0
		.amdhsa_exception_int_div_zero 0
	.end_amdhsa_kernel
	.section	.text._ZN9rocsparseL44gtsv_nopivot_strided_batch_pcr_shared_kernelILj128E21rocsparse_complex_numIfEEEviiiPKT0_S5_S5_PS3_,"axG",@progbits,_ZN9rocsparseL44gtsv_nopivot_strided_batch_pcr_shared_kernelILj128E21rocsparse_complex_numIfEEEviiiPKT0_S5_S5_PS3_,comdat
.Lfunc_end56:
	.size	_ZN9rocsparseL44gtsv_nopivot_strided_batch_pcr_shared_kernelILj128E21rocsparse_complex_numIfEEEviiiPKT0_S5_S5_PS3_, .Lfunc_end56-_ZN9rocsparseL44gtsv_nopivot_strided_batch_pcr_shared_kernelILj128E21rocsparse_complex_numIfEEEviiiPKT0_S5_S5_PS3_
                                        ; -- End function
	.set _ZN9rocsparseL44gtsv_nopivot_strided_batch_pcr_shared_kernelILj128E21rocsparse_complex_numIfEEEviiiPKT0_S5_S5_PS3_.num_vgpr, 43
	.set _ZN9rocsparseL44gtsv_nopivot_strided_batch_pcr_shared_kernelILj128E21rocsparse_complex_numIfEEEviiiPKT0_S5_S5_PS3_.num_agpr, 0
	.set _ZN9rocsparseL44gtsv_nopivot_strided_batch_pcr_shared_kernelILj128E21rocsparse_complex_numIfEEEviiiPKT0_S5_S5_PS3_.numbered_sgpr, 8
	.set _ZN9rocsparseL44gtsv_nopivot_strided_batch_pcr_shared_kernelILj128E21rocsparse_complex_numIfEEEviiiPKT0_S5_S5_PS3_.num_named_barrier, 0
	.set _ZN9rocsparseL44gtsv_nopivot_strided_batch_pcr_shared_kernelILj128E21rocsparse_complex_numIfEEEviiiPKT0_S5_S5_PS3_.private_seg_size, 0
	.set _ZN9rocsparseL44gtsv_nopivot_strided_batch_pcr_shared_kernelILj128E21rocsparse_complex_numIfEEEviiiPKT0_S5_S5_PS3_.uses_vcc, 1
	.set _ZN9rocsparseL44gtsv_nopivot_strided_batch_pcr_shared_kernelILj128E21rocsparse_complex_numIfEEEviiiPKT0_S5_S5_PS3_.uses_flat_scratch, 0
	.set _ZN9rocsparseL44gtsv_nopivot_strided_batch_pcr_shared_kernelILj128E21rocsparse_complex_numIfEEEviiiPKT0_S5_S5_PS3_.has_dyn_sized_stack, 0
	.set _ZN9rocsparseL44gtsv_nopivot_strided_batch_pcr_shared_kernelILj128E21rocsparse_complex_numIfEEEviiiPKT0_S5_S5_PS3_.has_recursion, 0
	.set _ZN9rocsparseL44gtsv_nopivot_strided_batch_pcr_shared_kernelILj128E21rocsparse_complex_numIfEEEviiiPKT0_S5_S5_PS3_.has_indirect_call, 0
	.section	.AMDGPU.csdata,"",@progbits
; Kernel info:
; codeLenInByte = 4328
; TotalNumSgprs: 10
; NumVgprs: 43
; ScratchSize: 0
; MemoryBound: 0
; FloatMode: 240
; IeeeMode: 1
; LDSByteSize: 5120 bytes/workgroup (compile time only)
; SGPRBlocks: 0
; VGPRBlocks: 2
; NumSGPRsForWavesPerEU: 10
; NumVGPRsForWavesPerEU: 43
; NamedBarCnt: 0
; Occupancy: 16
; WaveLimiterHint : 0
; COMPUTE_PGM_RSRC2:SCRATCH_EN: 0
; COMPUTE_PGM_RSRC2:USER_SGPR: 2
; COMPUTE_PGM_RSRC2:TRAP_HANDLER: 0
; COMPUTE_PGM_RSRC2:TGID_X_EN: 1
; COMPUTE_PGM_RSRC2:TGID_Y_EN: 0
; COMPUTE_PGM_RSRC2:TGID_Z_EN: 0
; COMPUTE_PGM_RSRC2:TIDIG_COMP_CNT: 0
	.section	.text._ZN9rocsparseL44gtsv_nopivot_strided_batch_pcr_shared_kernelILj256E21rocsparse_complex_numIfEEEviiiPKT0_S5_S5_PS3_,"axG",@progbits,_ZN9rocsparseL44gtsv_nopivot_strided_batch_pcr_shared_kernelILj256E21rocsparse_complex_numIfEEEviiiPKT0_S5_S5_PS3_,comdat
	.globl	_ZN9rocsparseL44gtsv_nopivot_strided_batch_pcr_shared_kernelILj256E21rocsparse_complex_numIfEEEviiiPKT0_S5_S5_PS3_ ; -- Begin function _ZN9rocsparseL44gtsv_nopivot_strided_batch_pcr_shared_kernelILj256E21rocsparse_complex_numIfEEEviiiPKT0_S5_S5_PS3_
	.p2align	8
	.type	_ZN9rocsparseL44gtsv_nopivot_strided_batch_pcr_shared_kernelILj256E21rocsparse_complex_numIfEEEviiiPKT0_S5_S5_PS3_,@function
_ZN9rocsparseL44gtsv_nopivot_strided_batch_pcr_shared_kernelILj256E21rocsparse_complex_numIfEEEviiiPKT0_S5_S5_PS3_: ; @_ZN9rocsparseL44gtsv_nopivot_strided_batch_pcr_shared_kernelILj256E21rocsparse_complex_numIfEEEviiiPKT0_S5_S5_PS3_
; %bb.0:
	s_clause 0x1
	s_load_b32 s2, s[0:1], 0x8
	s_load_b32 s3, s[0:1], 0x0
	s_bfe_u32 s4, ttmp6, 0x4000c
	s_and_b32 s5, ttmp6, 15
	s_add_co_i32 s4, s4, 1
	s_getreg_b32 s6, hwreg(HW_REG_IB_STS2, 6, 4)
	s_mul_i32 s4, ttmp9, s4
	v_dual_mov_b32 v2, 0 :: v_dual_mov_b32 v6, 0
	s_add_co_i32 s5, s5, s4
	s_cmp_eq_u32 s6, 0
	v_mov_b32_e32 v7, 0
	s_cselect_b32 s4, ttmp9, s5
	s_wait_kmcnt 0x0
	v_mad_u32 v1, s2, s4, v0
	v_cmp_gt_i32_e64 s2, s3, v0
	s_and_saveexec_b32 s4, s2
	s_cbranch_execz .LBB57_2
; %bb.1:
	s_load_b64 s[6:7], s[0:1], 0x10
	s_wait_kmcnt 0x0
	global_load_b64 v[6:7], v1, s[6:7] scale_offset
.LBB57_2:
	s_wait_xcnt 0x0
	s_or_b32 exec_lo, exec_lo, s4
	v_dual_lshlrev_b32 v8, 3, v0 :: v_dual_mov_b32 v4, 0
	v_mov_b32_e32 v5, 0
	s_wait_loadcnt 0x0
	ds_store_b64 v8, v[6:7]
	s_and_saveexec_b32 s4, s2
	s_cbranch_execz .LBB57_4
; %bb.3:
	s_load_b64 s[6:7], s[0:1], 0x18
	s_wait_kmcnt 0x0
	global_load_b64 v[4:5], v1, s[6:7] scale_offset
.LBB57_4:
	s_wait_xcnt 0x0
	s_or_b32 exec_lo, exec_lo, s4
	s_load_b64 s[4:5], s[0:1], 0x28
	v_mov_b32_e32 v3, 0
	s_wait_loadcnt 0x0
	ds_store_b64 v8, v[4:5] offset:2048
	s_and_saveexec_b32 s6, s2
	s_cbranch_execz .LBB57_6
; %bb.5:
	s_wait_xcnt 0x0
	s_load_b64 s[0:1], s[0:1], 0x20
	s_wait_kmcnt 0x0
	global_load_b64 v[2:3], v1, s[0:1] scale_offset
.LBB57_6:
	s_wait_xcnt 0x0
	s_or_b32 exec_lo, exec_lo, s6
	v_or_b32_e32 v6, 0x800, v8
	v_or_b32_e32 v7, 0x1000, v8
	v_dual_mov_b32 v4, 0 :: v_dual_mov_b32 v5, 0
	s_wait_loadcnt 0x0
	ds_store_b64 v8, v[2:3] offset:4096
	s_and_saveexec_b32 s0, s2
	s_cbranch_execz .LBB57_8
; %bb.7:
	s_wait_kmcnt 0x0
	global_load_b64 v[4:5], v1, s[4:5] scale_offset
.LBB57_8:
	s_wait_xcnt 0x0
	s_or_b32 exec_lo, exec_lo, s0
	v_max_i32_e32 v2, 1, v0
	s_add_co_i32 s1, s3, -1
	s_wait_loadcnt 0x0
	ds_store_b64 v8, v[4:5] offset:8192
	s_wait_dscnt 0x0
	s_barrier_signal -1
	v_lshlrev_b32_e32 v9, 3, v2
	v_add_min_i32_e64 v2, v0, 1, s1
	s_barrier_wait -1
	s_delay_alu instid0(VALU_DEP_1) | instskip(NEXT) | instid1(VALU_DEP_3)
	v_dual_lshlrev_b32 v14, 3, v2 :: v_dual_max_i32 v16, 2, v0
	v_add_nc_u32_e32 v3, 0x1f8, v9
	ds_load_2addr_stride64_b64 v[2:5], v3 offset0:3 offset1:7
	ds_load_2addr_stride64_b64 v[10:13], v14 offset1:4
	ds_load_b64 v[18:19], v8
	ds_load_b64 v[20:21], v7
	;; [unrolled: 1-line block ×3, first 2 shown]
	s_wait_dscnt 0x3
	v_dual_mul_f32 v30, v3, v3 :: v_dual_mul_f32 v31, v13, v13
	s_delay_alu instid0(VALU_DEP_1) | instskip(NEXT) | instid1(VALU_DEP_1)
	v_fmac_f32_e32 v30, v2, v2
	v_div_scale_f32 v32, null, v30, v30, 1.0
	v_div_scale_f32 v36, vcc_lo, 1.0, v30, 1.0
	s_delay_alu instid0(VALU_DEP_2) | instskip(SKIP_1) | instid1(TRANS32_DEP_1)
	v_rcp_f32_e32 v34, v32
	v_nop
	v_fma_f32 v15, -v32, v34, 1.0
	s_delay_alu instid0(VALU_DEP_1) | instskip(NEXT) | instid1(VALU_DEP_1)
	v_dual_fmac_f32 v31, v12, v12 :: v_dual_fmac_f32 v34, v15, v34
	v_div_scale_f32 v33, null, v31, v31, 1.0
	v_div_scale_f32 v37, s0, 1.0, v31, 1.0
	v_add_min_i32_e64 v15, v0, 2, s1
	s_delay_alu instid0(VALU_DEP_3) | instskip(SKIP_1) | instid1(VALU_DEP_2)
	v_rcp_f32_e32 v35, v33
	v_dual_mul_f32 v38, v36, v34 :: v_dual_lshlrev_b32 v39, 3, v16
	v_lshlrev_b32_e32 v40, 3, v15
	s_delay_alu instid0(TRANS32_DEP_1) | instskip(NEXT) | instid1(VALU_DEP_3)
	v_fma_f32 v17, -v33, v35, 1.0
	v_dual_fma_f32 v24, -v32, v38, v36 :: v_dual_add_nc_u32 v26, -8, v9
	s_delay_alu instid0(VALU_DEP_2)
	v_fmac_f32_e32 v35, v17, v35
	ds_load_2addr_stride64_b64 v[14:17], v14 offset0:8 offset1:16
	v_fmac_f32_e32 v38, v24, v34
	ds_load_b64 v[24:25], v9 offset:8184
	ds_load_b64 v[26:27], v26
	ds_load_b64 v[28:29], v8 offset:8192
	s_wait_dscnt 0x0
	v_mul_f32_e32 v41, v37, v35
	s_barrier_signal -1
	s_barrier_wait -1
	s_delay_alu instid0(VALU_DEP_1) | instskip(SKIP_1) | instid1(VALU_DEP_2)
	v_dual_fma_f32 v32, -v32, v38, v36 :: v_dual_fma_f32 v43, -v33, v41, v37
	v_mul_f32_e64 v9, v13, -v20
	v_div_fmas_f32 v32, v32, v34, v38
	s_delay_alu instid0(VALU_DEP_3) | instskip(SKIP_3) | instid1(VALU_DEP_2)
	v_fmac_f32_e32 v41, v43, v35
	v_dual_mul_f32 v43, v3, v19 :: v_dual_mul_f32 v3, v3, -v18
	s_mov_b32 vcc_lo, s0
	v_add_nc_u32_e32 v42, 0x1f0, v39
	v_dual_fma_f32 v33, -v33, v41, v37 :: v_dual_fmac_f32 v43, v18, v2
	s_delay_alu instid0(VALU_DEP_3) | instskip(SKIP_2) | instid1(VALU_DEP_4)
	v_fmac_f32_e32 v3, v19, v2
	v_div_fixup_f32 v19, v32, v30, 1.0
	v_mul_f32_e32 v13, v13, v21
	v_div_fmas_f32 v33, v33, v35, v41
	s_delay_alu instid0(VALU_DEP_3) | instskip(SKIP_1) | instid1(VALU_DEP_3)
	v_dual_fmac_f32 v9, v21, v12 :: v_dual_mul_f32 v18, v19, v43
	v_mul_f32_e32 v2, v3, v19
	v_div_fixup_f32 v32, v33, v31, 1.0
	v_fmac_f32_e32 v13, v20, v12
	s_delay_alu instid0(VALU_DEP_3) | instskip(NEXT) | instid1(VALU_DEP_2)
	v_pk_mul_f32 v[20:21], v[2:3], v[4:5] op_sel:[0,1] op_sel_hi:[0,0] neg_lo:[0,1]
	v_dual_mul_f32 v12, v9, v32 :: v_dual_mul_f32 v32, v32, v13
	v_pk_mul_f32 v[30:31], v[2:3], v[24:25] op_sel:[0,1] op_sel_hi:[0,0] neg_lo:[0,1]
	v_pk_mul_f32 v[2:3], v[2:3], v[26:27] op_sel:[0,1] op_sel_hi:[0,0] neg_hi:[0,1]
	s_delay_alu instid0(VALU_DEP_4) | instskip(NEXT) | instid1(VALU_DEP_4)
	v_pk_fma_f32 v[4:5], v[4:5], v[18:19], v[20:21] op_sel_hi:[1,0,1]
	v_pk_mul_f32 v[34:35], v[12:13], v[10:11] op_sel:[0,1] op_sel_hi:[0,0] neg_lo:[0,1]
	v_pk_mul_f32 v[36:37], v[12:13], v[16:17] op_sel:[0,1] op_sel_hi:[0,0] neg_lo:[0,1]
	v_pk_fma_f32 v[20:21], v[24:25], v[18:19], v[30:31] op_sel_hi:[1,0,1]
	v_pk_mul_f32 v[12:13], v[12:13], v[14:15] op_sel:[0,1] op_sel_hi:[0,0] neg_hi:[0,1]
	v_pk_add_f32 v[4:5], v[22:23], v[4:5] neg_lo:[0,1] neg_hi:[0,1]
	v_pk_fma_f32 v[10:11], v[10:11], v[32:33], v[34:35] op_sel_hi:[1,0,1]
	v_pk_fma_f32 v[16:17], v[16:17], v[32:33], v[36:37] op_sel_hi:[1,0,1]
	v_pk_add_f32 v[20:21], v[28:29], v[20:21] neg_lo:[0,1] neg_hi:[0,1]
	v_pk_fma_f32 v[2:3], v[26:27], v[18:19], v[2:3] op_sel_hi:[1,0,1] neg_lo:[1,0,0] neg_hi:[1,0,0]
	v_pk_fma_f32 v[12:13], v[14:15], v[32:33], v[12:13] op_sel_hi:[1,0,1] neg_lo:[1,0,0] neg_hi:[1,0,0]
	v_pk_add_f32 v[4:5], v[4:5], v[10:11] neg_lo:[0,1] neg_hi:[0,1]
	v_add_min_i32_e64 v15, v0, 4, s1
	v_pk_add_f32 v[10:11], v[20:21], v[16:17] neg_lo:[0,1] neg_hi:[0,1]
	ds_store_b64 v6, v[4:5]
	ds_store_b64 v8, v[10:11] offset:8192
	ds_store_b64 v8, v[2:3]
	ds_store_b64 v7, v[12:13]
	s_wait_dscnt 0x0
	s_barrier_signal -1
	s_barrier_wait -1
	ds_load_2addr_stride64_b64 v[2:5], v42 offset0:3 offset1:7
	ds_load_2addr_stride64_b64 v[10:13], v40 offset1:4
	ds_load_b64 v[18:19], v8
	ds_load_b64 v[20:21], v7
	ds_load_b64 v[22:23], v6
	v_lshlrev_b32_e32 v41, 3, v15
	s_wait_dscnt 0x3
	v_dual_mul_f32 v9, v3, v3 :: v_dual_mul_f32 v30, v13, v13
	s_delay_alu instid0(VALU_DEP_1) | instskip(NEXT) | instid1(VALU_DEP_1)
	v_fmac_f32_e32 v9, v2, v2
	v_div_scale_f32 v31, null, v9, v9, 1.0
	v_div_scale_f32 v35, vcc_lo, 1.0, v9, 1.0
	s_delay_alu instid0(VALU_DEP_2) | instskip(SKIP_1) | instid1(TRANS32_DEP_1)
	v_rcp_f32_e32 v33, v31
	v_nop
	v_fma_f32 v16, -v31, v33, 1.0
	s_delay_alu instid0(VALU_DEP_1) | instskip(NEXT) | instid1(VALU_DEP_1)
	v_dual_fmac_f32 v33, v16, v33 :: v_dual_max_i32 v14, 4, v0
	v_dual_fmac_f32 v30, v12, v12 :: v_dual_lshlrev_b32 v38, 3, v14
	s_delay_alu instid0(VALU_DEP_1) | instskip(SKIP_1) | instid1(VALU_DEP_2)
	v_div_scale_f32 v32, null, v30, v30, 1.0
	v_div_scale_f32 v36, s0, 1.0, v30, 1.0
	v_rcp_f32_e32 v34, v32
	v_nop
	s_delay_alu instid0(TRANS32_DEP_1) | instskip(NEXT) | instid1(VALU_DEP_1)
	v_fma_f32 v17, -v32, v34, 1.0
	v_dual_fmac_f32 v34, v17, v34 :: v_dual_mul_f32 v37, v35, v33
	s_delay_alu instid0(VALU_DEP_1) | instskip(NEXT) | instid1(VALU_DEP_2)
	v_dual_mul_f32 v42, v36, v34 :: v_dual_add_nc_u32 v14, -16, v39
	v_fma_f32 v15, -v31, v37, v35
	ds_load_b64 v[24:25], v39 offset:8176
	ds_load_b64 v[26:27], v14
	ds_load_b64 v[28:29], v8 offset:8192
	v_dual_fma_f32 v44, -v32, v42, v36 :: v_dual_fmac_f32 v37, v15, v33
	s_wait_dscnt 0x5
	v_dual_mul_f32 v39, v3, v19 :: v_dual_mul_f32 v3, v3, -v18
	ds_load_2addr_stride64_b64 v[14:17], v40 offset0:8 offset1:16
	v_dual_fmac_f32 v42, v44, v34 :: v_dual_fma_f32 v31, -v31, v37, v35
	s_wait_dscnt 0x5
	v_dual_mul_f32 v35, v13, -v20 :: v_dual_fmac_f32 v3, v19, v2
	s_delay_alu instid0(VALU_DEP_2) | instskip(NEXT) | instid1(VALU_DEP_3)
	v_dual_mul_f32 v13, v13, v21 :: v_dual_fma_f32 v32, -v32, v42, v36
	v_div_fmas_f32 v31, v31, v33, v37
	s_mov_b32 vcc_lo, s0
	s_delay_alu instid0(VALU_DEP_2) | instskip(NEXT) | instid1(VALU_DEP_3)
	v_dual_fmac_f32 v35, v21, v12 :: v_dual_fmac_f32 v13, v20, v12
	v_div_fmas_f32 v32, v32, v34, v42
	s_delay_alu instid0(VALU_DEP_3)
	v_div_fixup_f32 v9, v31, v9, 1.0
	v_add_nc_u32_e32 v43, 0x1e0, v38
	s_wait_dscnt 0x0
	s_barrier_signal -1
	v_div_fixup_f32 v19, v32, v30, 1.0
	v_dual_fmac_f32 v39, v18, v2 :: v_dual_mul_f32 v2, v3, v9
	s_barrier_wait -1
	s_delay_alu instid0(VALU_DEP_2) | instskip(NEXT) | instid1(VALU_DEP_2)
	v_mul_f32_e32 v12, v35, v19
	v_dual_mul_f32 v18, v9, v39 :: v_dual_mul_f32 v32, v19, v13
	s_delay_alu instid0(VALU_DEP_3) | instskip(SKIP_1) | instid1(VALU_DEP_4)
	v_pk_mul_f32 v[20:21], v[2:3], v[4:5] op_sel:[0,1] op_sel_hi:[0,0] neg_lo:[0,1]
	v_pk_mul_f32 v[30:31], v[2:3], v[24:25] op_sel:[0,1] op_sel_hi:[0,0] neg_lo:[0,1]
	;; [unrolled: 1-line block ×4, first 2 shown]
	v_pk_mul_f32 v[2:3], v[2:3], v[26:27] op_sel:[0,1] op_sel_hi:[0,0] neg_hi:[0,1]
	v_pk_fma_f32 v[4:5], v[4:5], v[18:19], v[20:21] op_sel_hi:[1,0,1]
	v_pk_fma_f32 v[20:21], v[24:25], v[18:19], v[30:31] op_sel_hi:[1,0,1]
	;; [unrolled: 1-line block ×4, first 2 shown]
	v_pk_mul_f32 v[12:13], v[12:13], v[14:15] op_sel:[0,1] op_sel_hi:[0,0] neg_hi:[0,1]
	v_pk_add_f32 v[4:5], v[22:23], v[4:5] neg_lo:[0,1] neg_hi:[0,1]
	v_pk_add_f32 v[20:21], v[28:29], v[20:21] neg_lo:[0,1] neg_hi:[0,1]
	v_pk_fma_f32 v[2:3], v[26:27], v[18:19], v[2:3] op_sel_hi:[1,0,1] neg_lo:[1,0,0] neg_hi:[1,0,0]
	s_delay_alu instid0(VALU_DEP_4) | instskip(NEXT) | instid1(VALU_DEP_4)
	v_pk_fma_f32 v[12:13], v[14:15], v[32:33], v[12:13] op_sel_hi:[1,0,1] neg_lo:[1,0,0] neg_hi:[1,0,0]
	v_pk_add_f32 v[4:5], v[4:5], v[10:11] neg_lo:[0,1] neg_hi:[0,1]
	s_delay_alu instid0(VALU_DEP_4)
	v_pk_add_f32 v[10:11], v[20:21], v[16:17] neg_lo:[0,1] neg_hi:[0,1]
	ds_store_b64 v6, v[4:5]
	ds_store_b64 v8, v[10:11] offset:8192
	ds_store_b64 v8, v[2:3]
	ds_store_b64 v7, v[12:13]
	s_wait_dscnt 0x0
	s_barrier_signal -1
	s_barrier_wait -1
	ds_load_2addr_stride64_b64 v[2:5], v43 offset0:3 offset1:7
	ds_load_2addr_stride64_b64 v[10:13], v41 offset1:4
	v_add_min_i32_e64 v15, v0, 8, s1
	ds_load_b64 v[18:19], v8
	ds_load_b64 v[20:21], v7
	;; [unrolled: 1-line block ×3, first 2 shown]
	v_lshlrev_b32_e32 v40, 3, v15
	s_wait_dscnt 0x3
	v_dual_mul_f32 v9, v3, v3 :: v_dual_mul_f32 v30, v13, v13
	s_delay_alu instid0(VALU_DEP_1) | instskip(NEXT) | instid1(VALU_DEP_1)
	v_dual_fmac_f32 v9, v2, v2 :: v_dual_fmac_f32 v30, v12, v12
	v_div_scale_f32 v31, null, v9, v9, 1.0
	s_delay_alu instid0(VALU_DEP_2) | instskip(SKIP_1) | instid1(VALU_DEP_3)
	v_div_scale_f32 v32, null, v30, v30, 1.0
	v_div_scale_f32 v35, vcc_lo, 1.0, v9, 1.0
	v_rcp_f32_e32 v33, v31
	s_delay_alu instid0(VALU_DEP_2) | instskip(SKIP_1) | instid1(TRANS32_DEP_2)
	v_rcp_f32_e32 v34, v32
	v_div_scale_f32 v36, s0, 1.0, v30, 1.0
	v_fma_f32 v16, -v31, v33, 1.0
	v_max_i32_e32 v14, 8, v0
	s_delay_alu instid0(TRANS32_DEP_1) | instskip(NEXT) | instid1(VALU_DEP_2)
	v_fma_f32 v17, -v32, v34, 1.0
	v_dual_fmac_f32 v33, v16, v33 :: v_dual_lshlrev_b32 v39, 3, v14
	s_delay_alu instid0(VALU_DEP_2)
	v_fmac_f32_e32 v34, v17, v34
	v_subrev_nc_u32_e32 v14, 32, v38
	ds_load_b64 v[24:25], v38 offset:8160
	ds_load_b64 v[26:27], v14
	ds_load_b64 v[28:29], v8 offset:8192
	v_dual_mul_f32 v37, v35, v33 :: v_dual_mul_f32 v42, v36, v34
	v_add_nc_u32_e32 v43, 0x1c0, v39
	s_wait_dscnt 0x5
	v_dual_mul_f32 v38, v3, v19 :: v_dual_mul_f32 v3, v3, -v18
	s_delay_alu instid0(VALU_DEP_3) | instskip(NEXT) | instid1(VALU_DEP_2)
	v_dual_fma_f32 v15, -v31, v37, v35 :: v_dual_fma_f32 v44, -v32, v42, v36
	v_dual_fmac_f32 v38, v18, v2 :: v_dual_fmac_f32 v3, v19, v2
	s_delay_alu instid0(VALU_DEP_2)
	v_dual_fmac_f32 v37, v15, v33 :: v_dual_fmac_f32 v42, v44, v34
	ds_load_2addr_stride64_b64 v[14:17], v41 offset0:8 offset1:16
	s_wait_dscnt 0x0
	s_barrier_signal -1
	v_dual_fma_f32 v31, -v31, v37, v35 :: v_dual_mul_f32 v35, v13, -v20
	v_dual_fma_f32 v32, -v32, v42, v36 :: v_dual_mul_f32 v13, v13, v21
	s_barrier_wait -1
	s_delay_alu instid0(VALU_DEP_2) | instskip(SKIP_1) | instid1(VALU_DEP_2)
	v_div_fmas_f32 v31, v31, v33, v37
	s_mov_b32 vcc_lo, s0
	v_div_fmas_f32 v32, v32, v34, v42
	s_delay_alu instid0(VALU_DEP_2) | instskip(SKIP_1) | instid1(VALU_DEP_3)
	v_div_fixup_f32 v9, v31, v9, 1.0
	v_fmac_f32_e32 v35, v21, v12
	v_div_fixup_f32 v19, v32, v30, 1.0
	s_delay_alu instid0(VALU_DEP_3) | instskip(NEXT) | instid1(VALU_DEP_2)
	v_dual_mul_f32 v2, v3, v9 :: v_dual_fmac_f32 v13, v20, v12
	v_dual_mul_f32 v12, v35, v19 :: v_dual_mul_f32 v18, v9, v38
	s_delay_alu instid0(VALU_DEP_2) | instskip(SKIP_1) | instid1(VALU_DEP_4)
	v_pk_mul_f32 v[20:21], v[2:3], v[4:5] op_sel:[0,1] op_sel_hi:[0,0] neg_lo:[0,1]
	v_pk_mul_f32 v[30:31], v[2:3], v[24:25] op_sel:[0,1] op_sel_hi:[0,0] neg_lo:[0,1]
	v_mul_f32_e32 v32, v19, v13
	s_delay_alu instid0(VALU_DEP_4)
	v_pk_mul_f32 v[34:35], v[12:13], v[10:11] op_sel:[0,1] op_sel_hi:[0,0] neg_lo:[0,1]
	v_pk_mul_f32 v[36:37], v[12:13], v[16:17] op_sel:[0,1] op_sel_hi:[0,0] neg_lo:[0,1]
	v_pk_fma_f32 v[4:5], v[4:5], v[18:19], v[20:21] op_sel_hi:[1,0,1]
	v_pk_fma_f32 v[20:21], v[24:25], v[18:19], v[30:31] op_sel_hi:[1,0,1]
	v_pk_mul_f32 v[2:3], v[2:3], v[26:27] op_sel:[0,1] op_sel_hi:[0,0] neg_hi:[0,1]
	v_pk_fma_f32 v[10:11], v[10:11], v[32:33], v[34:35] op_sel_hi:[1,0,1]
	v_pk_fma_f32 v[16:17], v[16:17], v[32:33], v[36:37] op_sel_hi:[1,0,1]
	v_pk_add_f32 v[4:5], v[22:23], v[4:5] neg_lo:[0,1] neg_hi:[0,1]
	v_pk_add_f32 v[20:21], v[28:29], v[20:21] neg_lo:[0,1] neg_hi:[0,1]
	v_pk_mul_f32 v[12:13], v[12:13], v[14:15] op_sel:[0,1] op_sel_hi:[0,0] neg_hi:[0,1]
	v_pk_fma_f32 v[2:3], v[26:27], v[18:19], v[2:3] op_sel_hi:[1,0,1] neg_lo:[1,0,0] neg_hi:[1,0,0]
	s_delay_alu instid0(VALU_DEP_4) | instskip(NEXT) | instid1(VALU_DEP_4)
	v_pk_add_f32 v[4:5], v[4:5], v[10:11] neg_lo:[0,1] neg_hi:[0,1]
	v_pk_add_f32 v[10:11], v[20:21], v[16:17] neg_lo:[0,1] neg_hi:[0,1]
	s_delay_alu instid0(VALU_DEP_4)
	v_pk_fma_f32 v[12:13], v[14:15], v[32:33], v[12:13] op_sel_hi:[1,0,1] neg_lo:[1,0,0] neg_hi:[1,0,0]
	ds_store_b64 v6, v[4:5]
	ds_store_b64 v8, v[10:11] offset:8192
	ds_store_b64 v8, v[2:3]
	ds_store_b64 v7, v[12:13]
	s_wait_dscnt 0x0
	s_barrier_signal -1
	s_barrier_wait -1
	ds_load_2addr_stride64_b64 v[2:5], v43 offset0:3 offset1:7
	ds_load_2addr_stride64_b64 v[10:13], v40 offset1:4
	ds_load_b64 v[18:19], v8
	ds_load_b64 v[20:21], v7
	v_add_min_i32_e64 v15, v0, 16, s1
	ds_load_b64 v[22:23], v6
	v_lshlrev_b32_e32 v41, 3, v15
	s_wait_dscnt 0x3
	v_dual_mul_f32 v9, v3, v3 :: v_dual_mul_f32 v30, v13, v13
	s_delay_alu instid0(VALU_DEP_1) | instskip(NEXT) | instid1(VALU_DEP_1)
	v_dual_fmac_f32 v9, v2, v2 :: v_dual_fmac_f32 v30, v12, v12
	v_div_scale_f32 v31, null, v9, v9, 1.0
	s_delay_alu instid0(VALU_DEP_2) | instskip(SKIP_1) | instid1(VALU_DEP_3)
	v_div_scale_f32 v32, null, v30, v30, 1.0
	v_div_scale_f32 v35, vcc_lo, 1.0, v9, 1.0
	v_rcp_f32_e32 v33, v31
	s_delay_alu instid0(VALU_DEP_2) | instskip(SKIP_1) | instid1(TRANS32_DEP_2)
	v_rcp_f32_e32 v34, v32
	v_div_scale_f32 v36, s0, 1.0, v30, 1.0
	v_fma_f32 v16, -v31, v33, 1.0
	v_max_i32_e32 v14, 16, v0
	s_delay_alu instid0(TRANS32_DEP_1) | instskip(NEXT) | instid1(VALU_DEP_2)
	v_fma_f32 v17, -v32, v34, 1.0
	v_dual_fmac_f32 v33, v16, v33 :: v_dual_lshlrev_b32 v38, 3, v14
	s_delay_alu instid0(VALU_DEP_2)
	v_fmac_f32_e32 v34, v17, v34
	v_subrev_nc_u32_e32 v14, 64, v39
	ds_load_b64 v[24:25], v39 offset:8128
	ds_load_b64 v[26:27], v14
	ds_load_b64 v[28:29], v8 offset:8192
	v_dual_mul_f32 v37, v35, v33 :: v_dual_mul_f32 v42, v36, v34
	s_wait_dscnt 0x5
	v_dual_mul_f32 v39, v3, v19 :: v_dual_mul_f32 v3, v3, -v18
	s_delay_alu instid0(VALU_DEP_2) | instskip(NEXT) | instid1(VALU_DEP_1)
	v_dual_fma_f32 v15, -v31, v37, v35 :: v_dual_fma_f32 v44, -v32, v42, v36
	v_dual_fmac_f32 v37, v15, v33 :: v_dual_fmac_f32 v42, v44, v34
	ds_load_2addr_stride64_b64 v[14:17], v40 offset0:8 offset1:16
	s_wait_dscnt 0x0
	s_barrier_signal -1
	v_dual_fma_f32 v31, -v31, v37, v35 :: v_dual_fma_f32 v32, -v32, v42, v36
	v_dual_mul_f32 v35, v13, -v20 :: v_dual_fmac_f32 v3, v19, v2
	v_mul_f32_e32 v13, v13, v21
	s_delay_alu instid0(VALU_DEP_3) | instskip(SKIP_1) | instid1(VALU_DEP_3)
	v_div_fmas_f32 v31, v31, v33, v37
	s_mov_b32 vcc_lo, s0
	v_fmac_f32_e32 v35, v21, v12
	v_div_fmas_f32 v32, v32, v34, v42
	v_fmac_f32_e32 v13, v20, v12
	v_div_fixup_f32 v9, v31, v9, 1.0
	v_add_nc_u32_e32 v43, 0x180, v38
	s_barrier_wait -1
	v_div_fixup_f32 v19, v32, v30, 1.0
	s_delay_alu instid0(VALU_DEP_3) | instskip(NEXT) | instid1(VALU_DEP_2)
	v_dual_fmac_f32 v39, v18, v2 :: v_dual_mul_f32 v2, v3, v9
	v_mul_f32_e32 v12, v35, v19
	s_delay_alu instid0(VALU_DEP_2) | instskip(NEXT) | instid1(VALU_DEP_3)
	v_dual_mul_f32 v18, v9, v39 :: v_dual_mul_f32 v32, v19, v13
	v_pk_mul_f32 v[20:21], v[2:3], v[4:5] op_sel:[0,1] op_sel_hi:[0,0] neg_lo:[0,1]
	v_pk_mul_f32 v[30:31], v[2:3], v[24:25] op_sel:[0,1] op_sel_hi:[0,0] neg_lo:[0,1]
	s_delay_alu instid0(VALU_DEP_4)
	v_pk_mul_f32 v[34:35], v[12:13], v[10:11] op_sel:[0,1] op_sel_hi:[0,0] neg_lo:[0,1]
	v_pk_mul_f32 v[36:37], v[12:13], v[16:17] op_sel:[0,1] op_sel_hi:[0,0] neg_lo:[0,1]
	v_pk_mul_f32 v[2:3], v[2:3], v[26:27] op_sel:[0,1] op_sel_hi:[0,0] neg_hi:[0,1]
	v_pk_fma_f32 v[4:5], v[4:5], v[18:19], v[20:21] op_sel_hi:[1,0,1]
	v_pk_fma_f32 v[20:21], v[24:25], v[18:19], v[30:31] op_sel_hi:[1,0,1]
	;; [unrolled: 1-line block ×4, first 2 shown]
	v_pk_mul_f32 v[12:13], v[12:13], v[14:15] op_sel:[0,1] op_sel_hi:[0,0] neg_hi:[0,1]
	v_pk_add_f32 v[4:5], v[22:23], v[4:5] neg_lo:[0,1] neg_hi:[0,1]
	v_pk_add_f32 v[20:21], v[28:29], v[20:21] neg_lo:[0,1] neg_hi:[0,1]
	v_pk_fma_f32 v[2:3], v[26:27], v[18:19], v[2:3] op_sel_hi:[1,0,1] neg_lo:[1,0,0] neg_hi:[1,0,0]
	s_delay_alu instid0(VALU_DEP_4) | instskip(NEXT) | instid1(VALU_DEP_4)
	v_pk_fma_f32 v[12:13], v[14:15], v[32:33], v[12:13] op_sel_hi:[1,0,1] neg_lo:[1,0,0] neg_hi:[1,0,0]
	v_pk_add_f32 v[4:5], v[4:5], v[10:11] neg_lo:[0,1] neg_hi:[0,1]
	s_delay_alu instid0(VALU_DEP_4)
	v_pk_add_f32 v[10:11], v[20:21], v[16:17] neg_lo:[0,1] neg_hi:[0,1]
	ds_store_b64 v6, v[4:5]
	ds_store_b64 v8, v[10:11] offset:8192
	ds_store_b64 v8, v[2:3]
	ds_store_b64 v7, v[12:13]
	s_wait_dscnt 0x0
	s_barrier_signal -1
	s_barrier_wait -1
	ds_load_2addr_stride64_b64 v[2:5], v43 offset0:3 offset1:7
	ds_load_2addr_stride64_b64 v[10:13], v41 offset1:4
	ds_load_b64 v[18:19], v8
	ds_load_b64 v[20:21], v7
	v_add_min_i32_e64 v15, v0, 32, s1
	ds_load_b64 v[22:23], v6
	v_lshlrev_b32_e32 v40, 3, v15
	s_wait_dscnt 0x3
	v_dual_mul_f32 v9, v3, v3 :: v_dual_mul_f32 v30, v13, v13
	s_delay_alu instid0(VALU_DEP_1) | instskip(NEXT) | instid1(VALU_DEP_1)
	v_dual_fmac_f32 v9, v2, v2 :: v_dual_fmac_f32 v30, v12, v12
	v_div_scale_f32 v31, null, v9, v9, 1.0
	s_delay_alu instid0(VALU_DEP_2) | instskip(SKIP_1) | instid1(VALU_DEP_3)
	v_div_scale_f32 v32, null, v30, v30, 1.0
	v_div_scale_f32 v35, vcc_lo, 1.0, v9, 1.0
	v_rcp_f32_e32 v33, v31
	s_delay_alu instid0(VALU_DEP_2) | instskip(SKIP_1) | instid1(TRANS32_DEP_2)
	v_rcp_f32_e32 v34, v32
	v_div_scale_f32 v36, s0, 1.0, v30, 1.0
	v_fma_f32 v16, -v31, v33, 1.0
	v_max_i32_e32 v14, 32, v0
	s_delay_alu instid0(TRANS32_DEP_1) | instskip(NEXT) | instid1(VALU_DEP_2)
	v_fma_f32 v17, -v32, v34, 1.0
	v_dual_fmac_f32 v33, v16, v33 :: v_dual_lshlrev_b32 v39, 3, v14
	s_delay_alu instid0(VALU_DEP_1) | instskip(NEXT) | instid1(VALU_DEP_1)
	v_dual_fmac_f32 v34, v17, v34 :: v_dual_mul_f32 v37, v35, v33
	v_dual_mul_f32 v42, v36, v34 :: v_dual_add_nc_u32 v43, 0x100, v39
	s_delay_alu instid0(VALU_DEP_1) | instskip(NEXT) | instid1(VALU_DEP_1)
	v_dual_fma_f32 v15, -v31, v37, v35 :: v_dual_fma_f32 v44, -v32, v42, v36
	v_dual_fmac_f32 v37, v15, v33 :: v_dual_add_nc_u32 v14, 0xffffff80, v38
	ds_load_b64 v[24:25], v38 offset:8064
	ds_load_b64 v[26:27], v14
	ds_load_b64 v[28:29], v8 offset:8192
	s_wait_dscnt 0x5
	v_dual_fmac_f32 v42, v44, v34 :: v_dual_mul_f32 v38, v3, v19
	v_fma_f32 v31, -v31, v37, v35
	s_wait_dscnt 0x4
	v_dual_mul_f32 v3, v3, -v18 :: v_dual_mul_f32 v35, v13, -v20
	s_delay_alu instid0(VALU_DEP_3)
	v_fma_f32 v32, -v32, v42, v36
	ds_load_2addr_stride64_b64 v[14:17], v41 offset0:8 offset1:16
	v_div_fmas_f32 v31, v31, v33, v37
	s_mov_b32 vcc_lo, s0
	v_dual_fmac_f32 v3, v19, v2 :: v_dual_mul_f32 v13, v13, v21
	v_div_fmas_f32 v32, v32, v34, v42
	s_delay_alu instid0(VALU_DEP_3) | instskip(SKIP_1) | instid1(VALU_DEP_4)
	v_div_fixup_f32 v9, v31, v9, 1.0
	v_dual_fmac_f32 v35, v21, v12 :: v_dual_fmac_f32 v38, v18, v2
	v_fmac_f32_e32 v13, v20, v12
	s_delay_alu instid0(VALU_DEP_4) | instskip(NEXT) | instid1(VALU_DEP_4)
	v_div_fixup_f32 v19, v32, v30, 1.0
	v_mul_f32_e32 v2, v3, v9
	s_wait_dscnt 0x0
	v_mul_f32_e32 v18, v9, v38
	s_barrier_signal -1
	v_mul_f32_e32 v12, v35, v19
	v_pk_mul_f32 v[20:21], v[2:3], v[4:5] op_sel:[0,1] op_sel_hi:[0,0] neg_lo:[0,1]
	v_pk_mul_f32 v[30:31], v[2:3], v[24:25] op_sel:[0,1] op_sel_hi:[0,0] neg_lo:[0,1]
	v_mul_f32_e32 v32, v19, v13
	v_pk_mul_f32 v[2:3], v[2:3], v[26:27] op_sel:[0,1] op_sel_hi:[0,0] neg_hi:[0,1]
	v_pk_mul_f32 v[34:35], v[12:13], v[10:11] op_sel:[0,1] op_sel_hi:[0,0] neg_lo:[0,1]
	v_pk_fma_f32 v[4:5], v[4:5], v[18:19], v[20:21] op_sel_hi:[1,0,1]
	v_pk_mul_f32 v[36:37], v[12:13], v[16:17] op_sel:[0,1] op_sel_hi:[0,0] neg_lo:[0,1]
	v_pk_fma_f32 v[20:21], v[24:25], v[18:19], v[30:31] op_sel_hi:[1,0,1]
	v_pk_mul_f32 v[12:13], v[12:13], v[14:15] op_sel:[0,1] op_sel_hi:[0,0] neg_hi:[0,1]
	v_pk_fma_f32 v[10:11], v[10:11], v[32:33], v[34:35] op_sel_hi:[1,0,1]
	v_pk_add_f32 v[4:5], v[22:23], v[4:5] neg_lo:[0,1] neg_hi:[0,1]
	v_pk_fma_f32 v[16:17], v[16:17], v[32:33], v[36:37] op_sel_hi:[1,0,1]
	v_pk_add_f32 v[20:21], v[28:29], v[20:21] neg_lo:[0,1] neg_hi:[0,1]
	v_pk_fma_f32 v[2:3], v[26:27], v[18:19], v[2:3] op_sel_hi:[1,0,1] neg_lo:[1,0,0] neg_hi:[1,0,0]
	v_pk_fma_f32 v[12:13], v[14:15], v[32:33], v[12:13] op_sel_hi:[1,0,1] neg_lo:[1,0,0] neg_hi:[1,0,0]
	v_pk_add_f32 v[4:5], v[4:5], v[10:11] neg_lo:[0,1] neg_hi:[0,1]
	s_barrier_wait -1
	v_pk_add_f32 v[10:11], v[20:21], v[16:17] neg_lo:[0,1] neg_hi:[0,1]
	ds_store_b64 v6, v[4:5]
	ds_store_b64 v8, v[10:11] offset:8192
	ds_store_b64 v8, v[2:3]
	ds_store_b64 v7, v[12:13]
	s_wait_dscnt 0x0
	s_barrier_signal -1
	s_barrier_wait -1
	ds_load_2addr_stride64_b64 v[2:5], v43 offset0:3 offset1:7
	ds_load_2addr_stride64_b64 v[10:13], v40 offset1:4
	v_max_i32_e32 v14, 64, v0
	ds_load_b64 v[18:19], v8
	ds_load_b64 v[20:21], v7
	ds_load_b64 v[22:23], v6
	s_wait_dscnt 0x3
	v_dual_mul_f32 v30, v13, v13 :: v_dual_mul_f32 v9, v3, v3
	s_delay_alu instid0(VALU_DEP_1) | instskip(NEXT) | instid1(VALU_DEP_1)
	v_dual_fmac_f32 v30, v12, v12 :: v_dual_fmac_f32 v9, v2, v2
	v_div_scale_f32 v32, null, v30, v30, 1.0
	s_delay_alu instid0(VALU_DEP_2) | instskip(SKIP_1) | instid1(VALU_DEP_3)
	v_div_scale_f32 v31, null, v9, v9, 1.0
	v_div_scale_f32 v35, vcc_lo, 1.0, v9, 1.0
	v_rcp_f32_e32 v34, v32
	s_delay_alu instid0(VALU_DEP_2) | instskip(SKIP_1) | instid1(TRANS32_DEP_2)
	v_rcp_f32_e32 v33, v31
	v_div_scale_f32 v36, s0, 1.0, v30, 1.0
	v_fma_f32 v16, -v32, v34, 1.0
	s_delay_alu instid0(TRANS32_DEP_1) | instskip(NEXT) | instid1(VALU_DEP_1)
	v_fma_f32 v15, -v31, v33, 1.0
	v_dual_fmac_f32 v34, v16, v34 :: v_dual_fmac_f32 v33, v15, v33
	v_add_min_i32_e64 v15, v0, 64, s1
	v_lshlrev_b32_e32 v38, 3, v14
	v_cmp_gt_u32_e64 s1, 0x80, v0
	s_delay_alu instid0(VALU_DEP_4) | instskip(NEXT) | instid1(VALU_DEP_1)
	v_dual_mul_f32 v41, v36, v34 :: v_dual_mul_f32 v37, v35, v33
	v_dual_lshlrev_b32 v42, 3, v15 :: v_dual_fma_f32 v43, -v32, v41, v36
	s_delay_alu instid0(VALU_DEP_2) | instskip(NEXT) | instid1(VALU_DEP_1)
	v_fma_f32 v15, -v31, v37, v35
	v_dual_fmac_f32 v37, v15, v33 :: v_dual_add_nc_u32 v14, 0xffffff00, v39
	ds_load_b64 v[24:25], v39 offset:7936
	ds_load_b64 v[26:27], v14
	ds_load_b64 v[28:29], v8 offset:8192
	s_wait_dscnt 0x5
	v_mul_f32_e32 v39, v3, v19
	v_fmac_f32_e32 v41, v43, v34
	ds_load_2addr_stride64_b64 v[14:17], v40 offset0:8 offset1:16
	s_wait_dscnt 0x5
	v_dual_fma_f32 v31, -v31, v37, v35 :: v_dual_mul_f32 v35, v13, -v20
	v_dual_mul_f32 v3, v3, -v18 :: v_dual_fma_f32 v32, -v32, v41, v36
	v_mul_f32_e32 v13, v13, v21
	s_delay_alu instid0(VALU_DEP_3) | instskip(SKIP_1) | instid1(VALU_DEP_3)
	v_div_fmas_f32 v31, v31, v33, v37
	s_mov_b32 vcc_lo, s0
	v_fmac_f32_e32 v3, v19, v2
	v_div_fmas_f32 v32, v32, v34, v41
	v_dual_fmac_f32 v39, v18, v2 :: v_dual_fmac_f32 v13, v20, v12
	v_div_fixup_f32 v9, v31, v9, 1.0
	v_fmac_f32_e32 v35, v21, v12
	s_delay_alu instid0(VALU_DEP_4) | instskip(SKIP_3) | instid1(VALU_DEP_2)
	v_div_fixup_f32 v19, v32, v30, 1.0
	s_wait_dscnt 0x0
	s_barrier_signal -1
	v_dual_mul_f32 v2, v3, v9 :: v_dual_mul_f32 v18, v9, v39
	v_mul_f32_e32 v32, v19, v13
	v_mul_f32_e32 v12, v35, v19
	s_barrier_wait -1
	s_delay_alu instid0(VALU_DEP_3)
	v_pk_mul_f32 v[20:21], v[2:3], v[4:5] op_sel:[0,1] op_sel_hi:[0,0] neg_lo:[0,1]
	v_pk_mul_f32 v[30:31], v[2:3], v[24:25] op_sel:[0,1] op_sel_hi:[0,0] neg_lo:[0,1]
	v_pk_mul_f32 v[2:3], v[2:3], v[26:27] op_sel:[0,1] op_sel_hi:[0,0] neg_hi:[0,1]
	v_pk_mul_f32 v[34:35], v[12:13], v[10:11] op_sel:[0,1] op_sel_hi:[0,0] neg_lo:[0,1]
	v_pk_mul_f32 v[36:37], v[12:13], v[16:17] op_sel:[0,1] op_sel_hi:[0,0] neg_lo:[0,1]
	v_pk_fma_f32 v[4:5], v[4:5], v[18:19], v[20:21] op_sel_hi:[1,0,1]
	v_pk_fma_f32 v[20:21], v[24:25], v[18:19], v[30:31] op_sel_hi:[1,0,1]
	v_pk_mul_f32 v[12:13], v[12:13], v[14:15] op_sel:[0,1] op_sel_hi:[0,0] neg_hi:[0,1]
	v_pk_fma_f32 v[10:11], v[10:11], v[32:33], v[34:35] op_sel_hi:[1,0,1]
	v_pk_fma_f32 v[16:17], v[16:17], v[32:33], v[36:37] op_sel_hi:[1,0,1]
	v_pk_add_f32 v[4:5], v[22:23], v[4:5] neg_lo:[0,1] neg_hi:[0,1]
	v_pk_add_f32 v[20:21], v[28:29], v[20:21] neg_lo:[0,1] neg_hi:[0,1]
	v_pk_fma_f32 v[2:3], v[26:27], v[18:19], v[2:3] op_sel_hi:[1,0,1] neg_lo:[1,0,0] neg_hi:[1,0,0]
	v_pk_fma_f32 v[12:13], v[14:15], v[32:33], v[12:13] op_sel_hi:[1,0,1] neg_lo:[1,0,0] neg_hi:[1,0,0]
	s_delay_alu instid0(VALU_DEP_4) | instskip(NEXT) | instid1(VALU_DEP_4)
	v_pk_add_f32 v[4:5], v[4:5], v[10:11] neg_lo:[0,1] neg_hi:[0,1]
	v_pk_add_f32 v[10:11], v[20:21], v[16:17] neg_lo:[0,1] neg_hi:[0,1]
	ds_store_b64 v6, v[4:5]
	ds_store_b64 v8, v[10:11] offset:8192
	ds_store_b64 v8, v[2:3]
	ds_store_b64 v7, v[12:13]
	s_wait_dscnt 0x0
	s_barrier_signal -1
	s_barrier_wait -1
	ds_load_2addr_stride64_b64 v[2:5], v38 offset0:3 offset1:7
	ds_load_2addr_stride64_b64 v[10:13], v42 offset1:4
	ds_load_b64 v[18:19], v8
	ds_load_b64 v[20:21], v7
	ds_load_b64 v[22:23], v6
	s_wait_dscnt 0x3
	v_dual_mul_f32 v30, v13, v13 :: v_dual_mul_f32 v9, v3, v3
	s_delay_alu instid0(VALU_DEP_1) | instskip(NEXT) | instid1(VALU_DEP_1)
	v_dual_fmac_f32 v30, v12, v12 :: v_dual_fmac_f32 v9, v2, v2
	v_div_scale_f32 v32, null, v30, v30, 1.0
	s_delay_alu instid0(VALU_DEP_2) | instskip(SKIP_1) | instid1(VALU_DEP_3)
	v_div_scale_f32 v31, null, v9, v9, 1.0
	v_div_scale_f32 v35, vcc_lo, 1.0, v9, 1.0
	v_rcp_f32_e32 v34, v32
	s_delay_alu instid0(VALU_DEP_2) | instskip(SKIP_1) | instid1(TRANS32_DEP_2)
	v_rcp_f32_e32 v33, v31
	v_div_scale_f32 v36, s0, 1.0, v30, 1.0
	v_fma_f32 v15, -v32, v34, 1.0
	s_delay_alu instid0(TRANS32_DEP_1) | instskip(NEXT) | instid1(VALU_DEP_1)
	v_fma_f32 v14, -v31, v33, 1.0
	v_dual_fmac_f32 v34, v15, v34 :: v_dual_fmac_f32 v33, v14, v33
	s_delay_alu instid0(VALU_DEP_1) | instskip(NEXT) | instid1(VALU_DEP_1)
	v_dual_mul_f32 v37, v35, v33 :: v_dual_mul_f32 v39, v36, v34
	v_fma_f32 v15, -v31, v37, v35
	v_add_nc_u32_e32 v14, 0xfffffe00, v38
	s_delay_alu instid0(VALU_DEP_2)
	v_dual_fma_f32 v40, -v32, v39, v36 :: v_dual_fmac_f32 v37, v15, v33
	ds_load_b64 v[24:25], v38 offset:7680
	ds_load_b64 v[26:27], v14
	ds_load_b64 v[28:29], v8 offset:8192
	s_wait_dscnt 0x5
	v_dual_mul_f32 v38, v3, v19 :: v_dual_mul_f32 v3, v3, -v18
	v_fmac_f32_e32 v39, v40, v34
	s_wait_dscnt 0x4
	v_dual_fma_f32 v31, -v31, v37, v35 :: v_dual_mul_f32 v35, v13, -v20
	ds_load_2addr_stride64_b64 v[14:17], v42 offset0:8 offset1:16
	v_dual_mul_f32 v13, v13, v21 :: v_dual_fma_f32 v32, -v32, v39, v36
	v_div_fmas_f32 v31, v31, v33, v37
	s_mov_b32 vcc_lo, s0
	v_dual_fmac_f32 v3, v19, v2 :: v_dual_fmac_f32 v38, v18, v2
	s_delay_alu instid0(VALU_DEP_3) | instskip(NEXT) | instid1(VALU_DEP_3)
	v_div_fmas_f32 v32, v32, v34, v39
	v_div_fixup_f32 v9, v31, v9, 1.0
	v_fmac_f32_e32 v35, v21, v12
	s_wait_dscnt 0x0
	s_barrier_signal -1
	v_div_fixup_f32 v19, v32, v30, 1.0
	v_dual_mul_f32 v2, v3, v9 :: v_dual_fmac_f32 v13, v20, v12
	s_barrier_wait -1
	s_delay_alu instid0(VALU_DEP_2) | instskip(NEXT) | instid1(VALU_DEP_2)
	v_dual_mul_f32 v12, v35, v19 :: v_dual_mul_f32 v18, v9, v38
	v_mul_f32_e32 v32, v19, v13
	s_delay_alu instid0(VALU_DEP_3) | instskip(SKIP_1) | instid1(VALU_DEP_4)
	v_pk_mul_f32 v[20:21], v[2:3], v[4:5] op_sel:[0,1] op_sel_hi:[0,0] neg_lo:[0,1]
	v_pk_mul_f32 v[30:31], v[2:3], v[24:25] op_sel:[0,1] op_sel_hi:[0,0] neg_lo:[0,1]
	;; [unrolled: 1-line block ×4, first 2 shown]
	v_pk_mul_f32 v[2:3], v[2:3], v[26:27] op_sel:[0,1] op_sel_hi:[0,0] neg_hi:[0,1]
	v_pk_fma_f32 v[4:5], v[4:5], v[18:19], v[20:21] op_sel_hi:[1,0,1]
	v_pk_fma_f32 v[20:21], v[24:25], v[18:19], v[30:31] op_sel_hi:[1,0,1]
	;; [unrolled: 1-line block ×4, first 2 shown]
	v_pk_mul_f32 v[12:13], v[12:13], v[14:15] op_sel:[0,1] op_sel_hi:[0,0] neg_hi:[0,1]
	v_pk_add_f32 v[4:5], v[22:23], v[4:5] neg_lo:[0,1] neg_hi:[0,1]
	v_pk_add_f32 v[20:21], v[28:29], v[20:21] neg_lo:[0,1] neg_hi:[0,1]
	v_pk_fma_f32 v[2:3], v[26:27], v[18:19], v[2:3] op_sel_hi:[1,0,1] neg_lo:[1,0,0] neg_hi:[1,0,0]
	s_delay_alu instid0(VALU_DEP_4) | instskip(NEXT) | instid1(VALU_DEP_4)
	v_pk_fma_f32 v[12:13], v[14:15], v[32:33], v[12:13] op_sel_hi:[1,0,1] neg_lo:[1,0,0] neg_hi:[1,0,0]
	v_pk_add_f32 v[4:5], v[4:5], v[10:11] neg_lo:[0,1] neg_hi:[0,1]
	s_delay_alu instid0(VALU_DEP_4)
	v_pk_add_f32 v[10:11], v[20:21], v[16:17] neg_lo:[0,1] neg_hi:[0,1]
	ds_store_b64 v6, v[4:5]
	ds_store_b64 v8, v[10:11] offset:8192
	ds_store_b64 v8, v[2:3]
	ds_store_b64 v7, v[12:13]
	s_wait_dscnt 0x0
	s_barrier_signal -1
	s_barrier_wait -1
	s_and_saveexec_b32 s0, s1
	s_cbranch_execz .LBB57_14
; %bb.9:
	v_or_b32_e32 v4, 0x80, v0
	v_or_b32_e32 v5, 0x2000, v8
	s_mov_b32 s1, exec_lo
                                        ; implicit-def: $vgpr2_vgpr3
	s_delay_alu instid0(VALU_DEP_2)
	v_cmpx_le_i32_e64 s3, v4
	s_xor_b32 s1, exec_lo, s1
	s_cbranch_execz .LBB57_11
; %bb.10:
	ds_load_b64 v[2:3], v6
	s_wait_dscnt 0x0
	v_mul_f32_e32 v9, v3, v3
	s_delay_alu instid0(VALU_DEP_1) | instskip(NEXT) | instid1(VALU_DEP_1)
	v_fmac_f32_e32 v9, v2, v2
	v_div_scale_f32 v6, null, v9, v9, 1.0
	s_delay_alu instid0(VALU_DEP_1) | instskip(SKIP_1) | instid1(TRANS32_DEP_1)
	v_rcp_f32_e32 v7, v6
	v_nop
	v_fma_f32 v4, -v6, v7, 1.0
	s_delay_alu instid0(VALU_DEP_1) | instskip(SKIP_3) | instid1(VALU_DEP_1)
	v_fmac_f32_e32 v7, v4, v7
	v_div_scale_f32 v10, vcc_lo, 1.0, v9, 1.0
	ds_load_b64 v[4:5], v5
	v_mul_f32_e32 v11, v10, v7
	v_fma_f32 v12, -v6, v11, v10
	s_delay_alu instid0(VALU_DEP_1) | instskip(NEXT) | instid1(VALU_DEP_1)
	v_fmac_f32_e32 v11, v12, v7
	v_fma_f32 v6, -v6, v11, v10
	s_delay_alu instid0(VALU_DEP_1) | instskip(SKIP_2) | instid1(VALU_DEP_2)
	v_div_fmas_f32 v10, v6, v7, v11
	s_wait_dscnt 0x0
	v_pk_mul_f32 v[6:7], v[2:3], v[4:5] op_sel:[1,1] op_sel_hi:[1,0] neg_hi:[0,1]
	v_div_fixup_f32 v10, v10, v9, 1.0
	s_delay_alu instid0(VALU_DEP_2) | instskip(NEXT) | instid1(VALU_DEP_1)
	v_pk_fma_f32 v[2:3], v[4:5], v[2:3], v[6:7] op_sel_hi:[1,0,1]
                                        ; implicit-def: $vgpr6
                                        ; implicit-def: $vgpr7
                                        ; implicit-def: $vgpr5
                                        ; implicit-def: $vgpr4
	v_pk_mul_f32 v[2:3], v[10:11], v[2:3] op_sel_hi:[0,1]
.LBB57_11:
	s_and_not1_saveexec_b32 s1, s1
	s_cbranch_execz .LBB57_13
; %bb.12:
	ds_load_2addr_stride64_b64 v[10:13], v6 offset1:2
	ds_load_b64 v[2:3], v7
	ds_load_b32 v0, v5
	ds_load_b64 v[6:7], v5
	ds_load_b64 v[14:15], v8 offset:1024
	s_wait_dscnt 0x4
	v_pk_mul_f32 v[16:17], v[10:11], v[12:13] op_sel:[1,1] op_sel_hi:[1,0] neg_lo:[0,1]
	s_wait_dscnt 0x0
	v_pk_mul_f32 v[18:19], v[14:15], v[2:3] op_sel:[1,1] op_sel_hi:[1,0] neg_lo:[0,1]
	s_delay_alu instid0(VALU_DEP_2) | instskip(SKIP_1) | instid1(VALU_DEP_3)
	v_pk_fma_f32 v[16:17], v[12:13], v[10:11], v[16:17] op_sel_hi:[1,0,1]
	v_pk_mul_f32 v[26:27], v[14:15], v[6:7] op_sel:[1,1] op_sel_hi:[1,0] neg_lo:[0,1]
	v_pk_fma_f32 v[18:19], v[2:3], v[14:15], v[18:19] op_sel_hi:[1,0,1]
	s_delay_alu instid0(VALU_DEP_2) | instskip(NEXT) | instid1(VALU_DEP_2)
	v_pk_fma_f32 v[6:7], v[6:7], v[14:15], v[26:27] op_sel_hi:[1,0,1]
	v_pk_add_f32 v[16:17], v[16:17], v[18:19] neg_lo:[0,1] neg_hi:[0,1]
	ds_load_b32 v18, v5 offset:1028
	ds_load_b64 v[20:21], v5 offset:1024
	v_add_nc_u32_e32 v19, 4, v5
	v_mul_f32_e32 v9, v17, v17
	s_delay_alu instid0(VALU_DEP_1) | instskip(NEXT) | instid1(VALU_DEP_1)
	v_fmac_f32_e32 v9, v16, v16
	v_div_scale_f32 v28, null, v9, v9, 1.0
	v_div_scale_f32 v5, vcc_lo, 1.0, v9, 1.0
	s_delay_alu instid0(VALU_DEP_2) | instskip(SKIP_2) | instid1(VALU_DEP_1)
	v_rcp_f32_e32 v30, v28
	s_wait_dscnt 0x0
	v_pk_mul_f32 v[24:25], v[10:11], v[20:21] op_sel:[1,1] op_sel_hi:[1,0] neg_lo:[0,1]
	v_pk_fma_f32 v[10:11], v[20:21], v[10:11], v[24:25] op_sel_hi:[1,0,1]
	s_delay_alu instid0(TRANS32_DEP_1) | instskip(NEXT) | instid1(VALU_DEP_2)
	v_fma_f32 v22, -v28, v30, 1.0
	v_pk_add_f32 v[6:7], v[10:11], v[6:7] neg_lo:[0,1] neg_hi:[0,1]
	s_delay_alu instid0(VALU_DEP_2) | instskip(SKIP_2) | instid1(VALU_DEP_1)
	v_fmac_f32_e32 v30, v22, v30
	ds_load_2addr_b32 v[22:23], v19 offset1:255
	v_mul_f32_e32 v31, v5, v30
	v_fma_f32 v19, -v28, v31, v5
	s_delay_alu instid0(VALU_DEP_1) | instskip(NEXT) | instid1(VALU_DEP_1)
	v_fmac_f32_e32 v31, v19, v30
	v_fma_f32 v5, -v28, v31, v5
	v_pk_mul_f32 v[18:19], v[18:19], v[2:3] op_sel:[0,1] op_sel_hi:[0,0] neg_lo:[0,1]
	s_wait_dscnt 0x0
	v_pk_mul_f32 v[28:29], v[22:23], v[12:13] op_sel:[0,1] op_sel_hi:[0,0] neg_lo:[0,1]
	v_mov_b32_e32 v22, v23
	v_div_fmas_f32 v5, v5, v30, v31
	s_delay_alu instid0(VALU_DEP_3) | instskip(NEXT) | instid1(VALU_DEP_3)
	v_pk_fma_f32 v[12:13], v[12:13], v[0:1], v[28:29] op_sel_hi:[1,0,1]
	v_pk_fma_f32 v[2:3], v[2:3], v[22:23], v[18:19] op_sel_hi:[1,0,1]
	v_fma_f32 v0, v16, 0, -v17
	s_delay_alu instid0(VALU_DEP_4) | instskip(SKIP_1) | instid1(VALU_DEP_4)
	v_div_fixup_f32 v5, v5, v9, 1.0
	v_fma_f32 v9, 0, v17, v16
	v_pk_add_f32 v[2:3], v[12:13], v[2:3] neg_lo:[0,1] neg_hi:[0,1]
	s_delay_alu instid0(VALU_DEP_2) | instskip(NEXT) | instid1(VALU_DEP_1)
	v_dual_mul_f32 v0, v0, v5 :: v_dual_mul_f32 v10, v9, v5
	v_pk_mul_f32 v[12:13], v[0:1], v[2:3] op_sel:[0,1] op_sel_hi:[0,0] neg_lo:[0,1]
	v_pk_mul_f32 v[14:15], v[0:1], v[6:7] op_sel:[0,1] op_sel_hi:[0,0] neg_lo:[0,1]
	v_mov_b32_e32 v0, v4
	s_delay_alu instid0(VALU_DEP_3) | instskip(NEXT) | instid1(VALU_DEP_3)
	v_pk_fma_f32 v[12:13], v[2:3], v[10:11], v[12:13] op_sel_hi:[1,0,1]
	v_pk_fma_f32 v[2:3], v[6:7], v[10:11], v[14:15] op_sel_hi:[1,0,1]
	ds_store_b64 v8, v[12:13] offset:6144
.LBB57_13:
	s_or_b32 exec_lo, exec_lo, s1
	v_lshlrev_b32_e32 v0, 3, v0
	ds_store_b64 v0, v[2:3] offset:6144
.LBB57_14:
	s_or_b32 exec_lo, exec_lo, s0
	s_wait_dscnt 0x0
	s_barrier_signal -1
	s_barrier_wait -1
	s_and_saveexec_b32 s0, s2
	s_cbranch_execz .LBB57_16
; %bb.15:
	ds_load_b64 v[2:3], v8 offset:6144
	s_wait_dscnt 0x0
	s_wait_kmcnt 0x0
	global_store_b64 v1, v[2:3], s[4:5] scale_offset
.LBB57_16:
	s_endpgm
	.section	.rodata,"a",@progbits
	.p2align	6, 0x0
	.amdhsa_kernel _ZN9rocsparseL44gtsv_nopivot_strided_batch_pcr_shared_kernelILj256E21rocsparse_complex_numIfEEEviiiPKT0_S5_S5_PS3_
		.amdhsa_group_segment_fixed_size 10240
		.amdhsa_private_segment_fixed_size 0
		.amdhsa_kernarg_size 48
		.amdhsa_user_sgpr_count 2
		.amdhsa_user_sgpr_dispatch_ptr 0
		.amdhsa_user_sgpr_queue_ptr 0
		.amdhsa_user_sgpr_kernarg_segment_ptr 1
		.amdhsa_user_sgpr_dispatch_id 0
		.amdhsa_user_sgpr_kernarg_preload_length 0
		.amdhsa_user_sgpr_kernarg_preload_offset 0
		.amdhsa_user_sgpr_private_segment_size 0
		.amdhsa_wavefront_size32 1
		.amdhsa_uses_dynamic_stack 0
		.amdhsa_enable_private_segment 0
		.amdhsa_system_sgpr_workgroup_id_x 1
		.amdhsa_system_sgpr_workgroup_id_y 0
		.amdhsa_system_sgpr_workgroup_id_z 0
		.amdhsa_system_sgpr_workgroup_info 0
		.amdhsa_system_vgpr_workitem_id 0
		.amdhsa_next_free_vgpr 45
		.amdhsa_next_free_sgpr 8
		.amdhsa_named_barrier_count 0
		.amdhsa_reserve_vcc 1
		.amdhsa_float_round_mode_32 0
		.amdhsa_float_round_mode_16_64 0
		.amdhsa_float_denorm_mode_32 3
		.amdhsa_float_denorm_mode_16_64 3
		.amdhsa_fp16_overflow 0
		.amdhsa_memory_ordered 1
		.amdhsa_forward_progress 1
		.amdhsa_inst_pref_size 40
		.amdhsa_round_robin_scheduling 0
		.amdhsa_exception_fp_ieee_invalid_op 0
		.amdhsa_exception_fp_denorm_src 0
		.amdhsa_exception_fp_ieee_div_zero 0
		.amdhsa_exception_fp_ieee_overflow 0
		.amdhsa_exception_fp_ieee_underflow 0
		.amdhsa_exception_fp_ieee_inexact 0
		.amdhsa_exception_int_div_zero 0
	.end_amdhsa_kernel
	.section	.text._ZN9rocsparseL44gtsv_nopivot_strided_batch_pcr_shared_kernelILj256E21rocsparse_complex_numIfEEEviiiPKT0_S5_S5_PS3_,"axG",@progbits,_ZN9rocsparseL44gtsv_nopivot_strided_batch_pcr_shared_kernelILj256E21rocsparse_complex_numIfEEEviiiPKT0_S5_S5_PS3_,comdat
.Lfunc_end57:
	.size	_ZN9rocsparseL44gtsv_nopivot_strided_batch_pcr_shared_kernelILj256E21rocsparse_complex_numIfEEEviiiPKT0_S5_S5_PS3_, .Lfunc_end57-_ZN9rocsparseL44gtsv_nopivot_strided_batch_pcr_shared_kernelILj256E21rocsparse_complex_numIfEEEviiiPKT0_S5_S5_PS3_
                                        ; -- End function
	.set _ZN9rocsparseL44gtsv_nopivot_strided_batch_pcr_shared_kernelILj256E21rocsparse_complex_numIfEEEviiiPKT0_S5_S5_PS3_.num_vgpr, 45
	.set _ZN9rocsparseL44gtsv_nopivot_strided_batch_pcr_shared_kernelILj256E21rocsparse_complex_numIfEEEviiiPKT0_S5_S5_PS3_.num_agpr, 0
	.set _ZN9rocsparseL44gtsv_nopivot_strided_batch_pcr_shared_kernelILj256E21rocsparse_complex_numIfEEEviiiPKT0_S5_S5_PS3_.numbered_sgpr, 8
	.set _ZN9rocsparseL44gtsv_nopivot_strided_batch_pcr_shared_kernelILj256E21rocsparse_complex_numIfEEEviiiPKT0_S5_S5_PS3_.num_named_barrier, 0
	.set _ZN9rocsparseL44gtsv_nopivot_strided_batch_pcr_shared_kernelILj256E21rocsparse_complex_numIfEEEviiiPKT0_S5_S5_PS3_.private_seg_size, 0
	.set _ZN9rocsparseL44gtsv_nopivot_strided_batch_pcr_shared_kernelILj256E21rocsparse_complex_numIfEEEviiiPKT0_S5_S5_PS3_.uses_vcc, 1
	.set _ZN9rocsparseL44gtsv_nopivot_strided_batch_pcr_shared_kernelILj256E21rocsparse_complex_numIfEEEviiiPKT0_S5_S5_PS3_.uses_flat_scratch, 0
	.set _ZN9rocsparseL44gtsv_nopivot_strided_batch_pcr_shared_kernelILj256E21rocsparse_complex_numIfEEEviiiPKT0_S5_S5_PS3_.has_dyn_sized_stack, 0
	.set _ZN9rocsparseL44gtsv_nopivot_strided_batch_pcr_shared_kernelILj256E21rocsparse_complex_numIfEEEviiiPKT0_S5_S5_PS3_.has_recursion, 0
	.set _ZN9rocsparseL44gtsv_nopivot_strided_batch_pcr_shared_kernelILj256E21rocsparse_complex_numIfEEEviiiPKT0_S5_S5_PS3_.has_indirect_call, 0
	.section	.AMDGPU.csdata,"",@progbits
; Kernel info:
; codeLenInByte = 5060
; TotalNumSgprs: 10
; NumVgprs: 45
; ScratchSize: 0
; MemoryBound: 0
; FloatMode: 240
; IeeeMode: 1
; LDSByteSize: 10240 bytes/workgroup (compile time only)
; SGPRBlocks: 0
; VGPRBlocks: 2
; NumSGPRsForWavesPerEU: 10
; NumVGPRsForWavesPerEU: 45
; NamedBarCnt: 0
; Occupancy: 16
; WaveLimiterHint : 0
; COMPUTE_PGM_RSRC2:SCRATCH_EN: 0
; COMPUTE_PGM_RSRC2:USER_SGPR: 2
; COMPUTE_PGM_RSRC2:TRAP_HANDLER: 0
; COMPUTE_PGM_RSRC2:TGID_X_EN: 1
; COMPUTE_PGM_RSRC2:TGID_Y_EN: 0
; COMPUTE_PGM_RSRC2:TGID_Z_EN: 0
; COMPUTE_PGM_RSRC2:TIDIG_COMP_CNT: 0
	.section	.text._ZN9rocsparseL44gtsv_nopivot_strided_batch_pcr_shared_kernelILj512E21rocsparse_complex_numIfEEEviiiPKT0_S5_S5_PS3_,"axG",@progbits,_ZN9rocsparseL44gtsv_nopivot_strided_batch_pcr_shared_kernelILj512E21rocsparse_complex_numIfEEEviiiPKT0_S5_S5_PS3_,comdat
	.globl	_ZN9rocsparseL44gtsv_nopivot_strided_batch_pcr_shared_kernelILj512E21rocsparse_complex_numIfEEEviiiPKT0_S5_S5_PS3_ ; -- Begin function _ZN9rocsparseL44gtsv_nopivot_strided_batch_pcr_shared_kernelILj512E21rocsparse_complex_numIfEEEviiiPKT0_S5_S5_PS3_
	.p2align	8
	.type	_ZN9rocsparseL44gtsv_nopivot_strided_batch_pcr_shared_kernelILj512E21rocsparse_complex_numIfEEEviiiPKT0_S5_S5_PS3_,@function
_ZN9rocsparseL44gtsv_nopivot_strided_batch_pcr_shared_kernelILj512E21rocsparse_complex_numIfEEEviiiPKT0_S5_S5_PS3_: ; @_ZN9rocsparseL44gtsv_nopivot_strided_batch_pcr_shared_kernelILj512E21rocsparse_complex_numIfEEEviiiPKT0_S5_S5_PS3_
; %bb.0:
	s_clause 0x1
	s_load_b32 s2, s[0:1], 0x8
	s_load_b32 s3, s[0:1], 0x0
	s_bfe_u32 s4, ttmp6, 0x4000c
	s_and_b32 s5, ttmp6, 15
	s_add_co_i32 s4, s4, 1
	s_getreg_b32 s6, hwreg(HW_REG_IB_STS2, 6, 4)
	s_mul_i32 s4, ttmp9, s4
	v_dual_mov_b32 v2, 0 :: v_dual_mov_b32 v6, 0
	s_add_co_i32 s5, s5, s4
	s_cmp_eq_u32 s6, 0
	v_mov_b32_e32 v7, 0
	s_cselect_b32 s4, ttmp9, s5
	s_wait_kmcnt 0x0
	v_mad_u32 v1, s2, s4, v0
	v_cmp_gt_i32_e64 s2, s3, v0
	s_and_saveexec_b32 s4, s2
	s_cbranch_execz .LBB58_2
; %bb.1:
	s_load_b64 s[6:7], s[0:1], 0x10
	s_wait_kmcnt 0x0
	global_load_b64 v[6:7], v1, s[6:7] scale_offset
.LBB58_2:
	s_wait_xcnt 0x0
	s_or_b32 exec_lo, exec_lo, s4
	v_dual_lshlrev_b32 v8, 3, v0 :: v_dual_mov_b32 v4, 0
	v_mov_b32_e32 v5, 0
	s_wait_loadcnt 0x0
	ds_store_b64 v8, v[6:7]
	s_and_saveexec_b32 s4, s2
	s_cbranch_execz .LBB58_4
; %bb.3:
	s_load_b64 s[6:7], s[0:1], 0x18
	s_wait_kmcnt 0x0
	global_load_b64 v[4:5], v1, s[6:7] scale_offset
.LBB58_4:
	s_wait_xcnt 0x0
	s_or_b32 exec_lo, exec_lo, s4
	s_load_b64 s[4:5], s[0:1], 0x28
	v_mov_b32_e32 v3, 0
	s_wait_loadcnt 0x0
	ds_store_b64 v8, v[4:5] offset:4096
	s_and_saveexec_b32 s6, s2
	s_cbranch_execz .LBB58_6
; %bb.5:
	s_wait_xcnt 0x0
	s_load_b64 s[0:1], s[0:1], 0x20
	s_wait_kmcnt 0x0
	global_load_b64 v[2:3], v1, s[0:1] scale_offset
.LBB58_6:
	s_wait_xcnt 0x0
	s_or_b32 exec_lo, exec_lo, s6
	v_or_b32_e32 v6, 0x1000, v8
	v_or_b32_e32 v7, 0x2000, v8
	v_dual_mov_b32 v4, 0 :: v_dual_mov_b32 v5, 0
	s_wait_loadcnt 0x0
	ds_store_b64 v8, v[2:3] offset:8192
	s_and_saveexec_b32 s0, s2
	s_cbranch_execz .LBB58_8
; %bb.7:
	s_wait_kmcnt 0x0
	global_load_b64 v[4:5], v1, s[4:5] scale_offset
.LBB58_8:
	s_wait_xcnt 0x0
	s_or_b32 exec_lo, exec_lo, s0
	v_max_i32_e32 v2, 1, v0
	s_add_co_i32 s1, s3, -1
	s_wait_loadcnt 0x0
	ds_store_b64 v8, v[4:5] offset:16384
	s_wait_dscnt 0x0
	s_barrier_signal -1
	v_lshlrev_b32_e32 v9, 3, v2
	v_add_min_i32_e64 v2, v0, 1, s1
	s_barrier_wait -1
	s_delay_alu instid0(VALU_DEP_1) | instskip(NEXT) | instid1(VALU_DEP_3)
	v_dual_lshlrev_b32 v14, 3, v2 :: v_dual_max_i32 v16, 2, v0
	v_add_nc_u32_e32 v3, 0x1f8, v9
	ds_load_2addr_stride64_b64 v[2:5], v3 offset0:7 offset1:15
	ds_load_2addr_stride64_b64 v[10:13], v14 offset1:8
	ds_load_b64 v[18:19], v8
	ds_load_b64 v[20:21], v7
	;; [unrolled: 1-line block ×3, first 2 shown]
	s_wait_dscnt 0x3
	v_dual_mul_f32 v30, v3, v3 :: v_dual_mul_f32 v31, v13, v13
	s_delay_alu instid0(VALU_DEP_1) | instskip(NEXT) | instid1(VALU_DEP_1)
	v_fmac_f32_e32 v30, v2, v2
	v_div_scale_f32 v32, null, v30, v30, 1.0
	v_div_scale_f32 v36, vcc_lo, 1.0, v30, 1.0
	s_delay_alu instid0(VALU_DEP_2) | instskip(SKIP_1) | instid1(TRANS32_DEP_1)
	v_rcp_f32_e32 v34, v32
	v_nop
	v_fma_f32 v15, -v32, v34, 1.0
	s_delay_alu instid0(VALU_DEP_1) | instskip(NEXT) | instid1(VALU_DEP_1)
	v_dual_fmac_f32 v31, v12, v12 :: v_dual_fmac_f32 v34, v15, v34
	v_div_scale_f32 v33, null, v31, v31, 1.0
	v_div_scale_f32 v37, s0, 1.0, v31, 1.0
	v_add_min_i32_e64 v15, v0, 2, s1
	s_delay_alu instid0(VALU_DEP_3) | instskip(SKIP_1) | instid1(VALU_DEP_2)
	v_rcp_f32_e32 v35, v33
	v_dual_mul_f32 v38, v36, v34 :: v_dual_lshlrev_b32 v39, 3, v16
	v_lshlrev_b32_e32 v40, 3, v15
	s_delay_alu instid0(TRANS32_DEP_1) | instskip(NEXT) | instid1(VALU_DEP_3)
	v_fma_f32 v17, -v33, v35, 1.0
	v_dual_fma_f32 v24, -v32, v38, v36 :: v_dual_add_nc_u32 v26, -8, v9
	s_delay_alu instid0(VALU_DEP_2)
	v_fmac_f32_e32 v35, v17, v35
	ds_load_2addr_stride64_b64 v[14:17], v14 offset0:16 offset1:32
	v_fmac_f32_e32 v38, v24, v34
	ds_load_b64 v[24:25], v9 offset:16376
	ds_load_b64 v[26:27], v26
	ds_load_b64 v[28:29], v8 offset:16384
	s_wait_dscnt 0x0
	v_mul_f32_e32 v41, v37, v35
	s_barrier_signal -1
	s_barrier_wait -1
	s_delay_alu instid0(VALU_DEP_1) | instskip(SKIP_1) | instid1(VALU_DEP_2)
	v_dual_fma_f32 v32, -v32, v38, v36 :: v_dual_fma_f32 v43, -v33, v41, v37
	v_mul_f32_e64 v9, v13, -v20
	v_div_fmas_f32 v32, v32, v34, v38
	s_delay_alu instid0(VALU_DEP_3) | instskip(SKIP_3) | instid1(VALU_DEP_2)
	v_fmac_f32_e32 v41, v43, v35
	v_dual_mul_f32 v43, v3, v19 :: v_dual_mul_f32 v3, v3, -v18
	s_mov_b32 vcc_lo, s0
	v_add_nc_u32_e32 v42, 0x1f0, v39
	v_dual_fma_f32 v33, -v33, v41, v37 :: v_dual_fmac_f32 v43, v18, v2
	s_delay_alu instid0(VALU_DEP_3) | instskip(SKIP_2) | instid1(VALU_DEP_4)
	v_fmac_f32_e32 v3, v19, v2
	v_div_fixup_f32 v19, v32, v30, 1.0
	v_mul_f32_e32 v13, v13, v21
	v_div_fmas_f32 v33, v33, v35, v41
	s_delay_alu instid0(VALU_DEP_3) | instskip(SKIP_1) | instid1(VALU_DEP_3)
	v_dual_fmac_f32 v9, v21, v12 :: v_dual_mul_f32 v18, v19, v43
	v_mul_f32_e32 v2, v3, v19
	v_div_fixup_f32 v32, v33, v31, 1.0
	v_fmac_f32_e32 v13, v20, v12
	s_delay_alu instid0(VALU_DEP_3) | instskip(NEXT) | instid1(VALU_DEP_2)
	v_pk_mul_f32 v[20:21], v[2:3], v[4:5] op_sel:[0,1] op_sel_hi:[0,0] neg_lo:[0,1]
	v_dual_mul_f32 v12, v9, v32 :: v_dual_mul_f32 v32, v32, v13
	v_pk_mul_f32 v[30:31], v[2:3], v[24:25] op_sel:[0,1] op_sel_hi:[0,0] neg_lo:[0,1]
	v_pk_mul_f32 v[2:3], v[2:3], v[26:27] op_sel:[0,1] op_sel_hi:[0,0] neg_hi:[0,1]
	s_delay_alu instid0(VALU_DEP_4) | instskip(NEXT) | instid1(VALU_DEP_4)
	v_pk_fma_f32 v[4:5], v[4:5], v[18:19], v[20:21] op_sel_hi:[1,0,1]
	v_pk_mul_f32 v[34:35], v[12:13], v[10:11] op_sel:[0,1] op_sel_hi:[0,0] neg_lo:[0,1]
	v_pk_mul_f32 v[36:37], v[12:13], v[16:17] op_sel:[0,1] op_sel_hi:[0,0] neg_lo:[0,1]
	v_pk_fma_f32 v[20:21], v[24:25], v[18:19], v[30:31] op_sel_hi:[1,0,1]
	v_pk_mul_f32 v[12:13], v[12:13], v[14:15] op_sel:[0,1] op_sel_hi:[0,0] neg_hi:[0,1]
	v_pk_add_f32 v[4:5], v[22:23], v[4:5] neg_lo:[0,1] neg_hi:[0,1]
	v_pk_fma_f32 v[10:11], v[10:11], v[32:33], v[34:35] op_sel_hi:[1,0,1]
	v_pk_fma_f32 v[16:17], v[16:17], v[32:33], v[36:37] op_sel_hi:[1,0,1]
	v_pk_add_f32 v[20:21], v[28:29], v[20:21] neg_lo:[0,1] neg_hi:[0,1]
	v_pk_fma_f32 v[2:3], v[26:27], v[18:19], v[2:3] op_sel_hi:[1,0,1] neg_lo:[1,0,0] neg_hi:[1,0,0]
	v_pk_fma_f32 v[12:13], v[14:15], v[32:33], v[12:13] op_sel_hi:[1,0,1] neg_lo:[1,0,0] neg_hi:[1,0,0]
	v_pk_add_f32 v[4:5], v[4:5], v[10:11] neg_lo:[0,1] neg_hi:[0,1]
	v_add_min_i32_e64 v15, v0, 4, s1
	v_pk_add_f32 v[10:11], v[20:21], v[16:17] neg_lo:[0,1] neg_hi:[0,1]
	ds_store_b64 v6, v[4:5]
	ds_store_b64 v8, v[10:11] offset:16384
	ds_store_b64 v8, v[2:3]
	ds_store_b64 v7, v[12:13]
	s_wait_dscnt 0x0
	s_barrier_signal -1
	s_barrier_wait -1
	ds_load_2addr_stride64_b64 v[2:5], v42 offset0:7 offset1:15
	ds_load_2addr_stride64_b64 v[10:13], v40 offset1:8
	ds_load_b64 v[18:19], v8
	ds_load_b64 v[20:21], v7
	;; [unrolled: 1-line block ×3, first 2 shown]
	v_lshlrev_b32_e32 v41, 3, v15
	s_wait_dscnt 0x3
	v_dual_mul_f32 v9, v3, v3 :: v_dual_mul_f32 v30, v13, v13
	s_delay_alu instid0(VALU_DEP_1) | instskip(NEXT) | instid1(VALU_DEP_1)
	v_fmac_f32_e32 v9, v2, v2
	v_div_scale_f32 v31, null, v9, v9, 1.0
	v_div_scale_f32 v35, vcc_lo, 1.0, v9, 1.0
	s_delay_alu instid0(VALU_DEP_2) | instskip(SKIP_1) | instid1(TRANS32_DEP_1)
	v_rcp_f32_e32 v33, v31
	v_nop
	v_fma_f32 v16, -v31, v33, 1.0
	s_delay_alu instid0(VALU_DEP_1) | instskip(NEXT) | instid1(VALU_DEP_1)
	v_dual_fmac_f32 v33, v16, v33 :: v_dual_max_i32 v14, 4, v0
	v_dual_fmac_f32 v30, v12, v12 :: v_dual_lshlrev_b32 v38, 3, v14
	s_delay_alu instid0(VALU_DEP_1) | instskip(SKIP_1) | instid1(VALU_DEP_2)
	v_div_scale_f32 v32, null, v30, v30, 1.0
	v_div_scale_f32 v36, s0, 1.0, v30, 1.0
	v_rcp_f32_e32 v34, v32
	v_nop
	s_delay_alu instid0(TRANS32_DEP_1) | instskip(NEXT) | instid1(VALU_DEP_1)
	v_fma_f32 v17, -v32, v34, 1.0
	v_dual_fmac_f32 v34, v17, v34 :: v_dual_mul_f32 v37, v35, v33
	s_delay_alu instid0(VALU_DEP_1) | instskip(NEXT) | instid1(VALU_DEP_2)
	v_dual_mul_f32 v42, v36, v34 :: v_dual_add_nc_u32 v14, -16, v39
	v_fma_f32 v15, -v31, v37, v35
	ds_load_b64 v[24:25], v39 offset:16368
	ds_load_b64 v[26:27], v14
	ds_load_b64 v[28:29], v8 offset:16384
	v_dual_fma_f32 v44, -v32, v42, v36 :: v_dual_fmac_f32 v37, v15, v33
	s_wait_dscnt 0x5
	v_dual_mul_f32 v39, v3, v19 :: v_dual_mul_f32 v3, v3, -v18
	ds_load_2addr_stride64_b64 v[14:17], v40 offset0:16 offset1:32
	v_dual_fmac_f32 v42, v44, v34 :: v_dual_fma_f32 v31, -v31, v37, v35
	s_wait_dscnt 0x5
	v_dual_mul_f32 v35, v13, -v20 :: v_dual_fmac_f32 v3, v19, v2
	s_delay_alu instid0(VALU_DEP_2) | instskip(NEXT) | instid1(VALU_DEP_3)
	v_dual_mul_f32 v13, v13, v21 :: v_dual_fma_f32 v32, -v32, v42, v36
	v_div_fmas_f32 v31, v31, v33, v37
	s_mov_b32 vcc_lo, s0
	s_delay_alu instid0(VALU_DEP_2) | instskip(NEXT) | instid1(VALU_DEP_3)
	v_dual_fmac_f32 v35, v21, v12 :: v_dual_fmac_f32 v13, v20, v12
	v_div_fmas_f32 v32, v32, v34, v42
	s_delay_alu instid0(VALU_DEP_3)
	v_div_fixup_f32 v9, v31, v9, 1.0
	v_add_nc_u32_e32 v43, 0x1e0, v38
	s_wait_dscnt 0x0
	s_barrier_signal -1
	v_div_fixup_f32 v19, v32, v30, 1.0
	v_dual_fmac_f32 v39, v18, v2 :: v_dual_mul_f32 v2, v3, v9
	s_barrier_wait -1
	s_delay_alu instid0(VALU_DEP_2) | instskip(NEXT) | instid1(VALU_DEP_2)
	v_mul_f32_e32 v12, v35, v19
	v_dual_mul_f32 v18, v9, v39 :: v_dual_mul_f32 v32, v19, v13
	s_delay_alu instid0(VALU_DEP_3) | instskip(SKIP_1) | instid1(VALU_DEP_4)
	v_pk_mul_f32 v[20:21], v[2:3], v[4:5] op_sel:[0,1] op_sel_hi:[0,0] neg_lo:[0,1]
	v_pk_mul_f32 v[30:31], v[2:3], v[24:25] op_sel:[0,1] op_sel_hi:[0,0] neg_lo:[0,1]
	;; [unrolled: 1-line block ×4, first 2 shown]
	v_pk_mul_f32 v[2:3], v[2:3], v[26:27] op_sel:[0,1] op_sel_hi:[0,0] neg_hi:[0,1]
	v_pk_fma_f32 v[4:5], v[4:5], v[18:19], v[20:21] op_sel_hi:[1,0,1]
	v_pk_fma_f32 v[20:21], v[24:25], v[18:19], v[30:31] op_sel_hi:[1,0,1]
	;; [unrolled: 1-line block ×4, first 2 shown]
	v_pk_mul_f32 v[12:13], v[12:13], v[14:15] op_sel:[0,1] op_sel_hi:[0,0] neg_hi:[0,1]
	v_pk_add_f32 v[4:5], v[22:23], v[4:5] neg_lo:[0,1] neg_hi:[0,1]
	v_pk_add_f32 v[20:21], v[28:29], v[20:21] neg_lo:[0,1] neg_hi:[0,1]
	v_pk_fma_f32 v[2:3], v[26:27], v[18:19], v[2:3] op_sel_hi:[1,0,1] neg_lo:[1,0,0] neg_hi:[1,0,0]
	s_delay_alu instid0(VALU_DEP_4) | instskip(NEXT) | instid1(VALU_DEP_4)
	v_pk_fma_f32 v[12:13], v[14:15], v[32:33], v[12:13] op_sel_hi:[1,0,1] neg_lo:[1,0,0] neg_hi:[1,0,0]
	v_pk_add_f32 v[4:5], v[4:5], v[10:11] neg_lo:[0,1] neg_hi:[0,1]
	s_delay_alu instid0(VALU_DEP_4)
	v_pk_add_f32 v[10:11], v[20:21], v[16:17] neg_lo:[0,1] neg_hi:[0,1]
	ds_store_b64 v6, v[4:5]
	ds_store_b64 v8, v[10:11] offset:16384
	ds_store_b64 v8, v[2:3]
	ds_store_b64 v7, v[12:13]
	s_wait_dscnt 0x0
	s_barrier_signal -1
	s_barrier_wait -1
	ds_load_2addr_stride64_b64 v[2:5], v43 offset0:7 offset1:15
	ds_load_2addr_stride64_b64 v[10:13], v41 offset1:8
	v_add_min_i32_e64 v15, v0, 8, s1
	ds_load_b64 v[18:19], v8
	ds_load_b64 v[20:21], v7
	;; [unrolled: 1-line block ×3, first 2 shown]
	v_lshlrev_b32_e32 v40, 3, v15
	s_wait_dscnt 0x3
	v_dual_mul_f32 v9, v3, v3 :: v_dual_mul_f32 v30, v13, v13
	s_delay_alu instid0(VALU_DEP_1) | instskip(NEXT) | instid1(VALU_DEP_1)
	v_dual_fmac_f32 v9, v2, v2 :: v_dual_fmac_f32 v30, v12, v12
	v_div_scale_f32 v31, null, v9, v9, 1.0
	s_delay_alu instid0(VALU_DEP_2) | instskip(SKIP_1) | instid1(VALU_DEP_3)
	v_div_scale_f32 v32, null, v30, v30, 1.0
	v_div_scale_f32 v35, vcc_lo, 1.0, v9, 1.0
	v_rcp_f32_e32 v33, v31
	s_delay_alu instid0(VALU_DEP_2) | instskip(SKIP_1) | instid1(TRANS32_DEP_2)
	v_rcp_f32_e32 v34, v32
	v_div_scale_f32 v36, s0, 1.0, v30, 1.0
	v_fma_f32 v16, -v31, v33, 1.0
	v_max_i32_e32 v14, 8, v0
	s_delay_alu instid0(TRANS32_DEP_1) | instskip(NEXT) | instid1(VALU_DEP_2)
	v_fma_f32 v17, -v32, v34, 1.0
	v_dual_fmac_f32 v33, v16, v33 :: v_dual_lshlrev_b32 v39, 3, v14
	s_delay_alu instid0(VALU_DEP_2)
	v_fmac_f32_e32 v34, v17, v34
	v_subrev_nc_u32_e32 v14, 32, v38
	ds_load_b64 v[24:25], v38 offset:16352
	ds_load_b64 v[26:27], v14
	ds_load_b64 v[28:29], v8 offset:16384
	v_dual_mul_f32 v37, v35, v33 :: v_dual_mul_f32 v42, v36, v34
	v_add_nc_u32_e32 v43, 0x1c0, v39
	s_wait_dscnt 0x5
	v_dual_mul_f32 v38, v3, v19 :: v_dual_mul_f32 v3, v3, -v18
	s_delay_alu instid0(VALU_DEP_3) | instskip(NEXT) | instid1(VALU_DEP_2)
	v_dual_fma_f32 v15, -v31, v37, v35 :: v_dual_fma_f32 v44, -v32, v42, v36
	v_dual_fmac_f32 v38, v18, v2 :: v_dual_fmac_f32 v3, v19, v2
	s_delay_alu instid0(VALU_DEP_2)
	v_dual_fmac_f32 v37, v15, v33 :: v_dual_fmac_f32 v42, v44, v34
	ds_load_2addr_stride64_b64 v[14:17], v41 offset0:16 offset1:32
	s_wait_dscnt 0x0
	s_barrier_signal -1
	v_dual_fma_f32 v31, -v31, v37, v35 :: v_dual_mul_f32 v35, v13, -v20
	v_dual_fma_f32 v32, -v32, v42, v36 :: v_dual_mul_f32 v13, v13, v21
	s_barrier_wait -1
	s_delay_alu instid0(VALU_DEP_2) | instskip(SKIP_1) | instid1(VALU_DEP_2)
	v_div_fmas_f32 v31, v31, v33, v37
	s_mov_b32 vcc_lo, s0
	v_div_fmas_f32 v32, v32, v34, v42
	s_delay_alu instid0(VALU_DEP_2) | instskip(SKIP_1) | instid1(VALU_DEP_3)
	v_div_fixup_f32 v9, v31, v9, 1.0
	v_fmac_f32_e32 v35, v21, v12
	v_div_fixup_f32 v19, v32, v30, 1.0
	s_delay_alu instid0(VALU_DEP_3) | instskip(NEXT) | instid1(VALU_DEP_2)
	v_dual_mul_f32 v2, v3, v9 :: v_dual_fmac_f32 v13, v20, v12
	v_dual_mul_f32 v12, v35, v19 :: v_dual_mul_f32 v18, v9, v38
	s_delay_alu instid0(VALU_DEP_2) | instskip(SKIP_1) | instid1(VALU_DEP_4)
	v_pk_mul_f32 v[20:21], v[2:3], v[4:5] op_sel:[0,1] op_sel_hi:[0,0] neg_lo:[0,1]
	v_pk_mul_f32 v[30:31], v[2:3], v[24:25] op_sel:[0,1] op_sel_hi:[0,0] neg_lo:[0,1]
	v_mul_f32_e32 v32, v19, v13
	s_delay_alu instid0(VALU_DEP_4)
	v_pk_mul_f32 v[34:35], v[12:13], v[10:11] op_sel:[0,1] op_sel_hi:[0,0] neg_lo:[0,1]
	v_pk_mul_f32 v[36:37], v[12:13], v[16:17] op_sel:[0,1] op_sel_hi:[0,0] neg_lo:[0,1]
	v_pk_fma_f32 v[4:5], v[4:5], v[18:19], v[20:21] op_sel_hi:[1,0,1]
	v_pk_fma_f32 v[20:21], v[24:25], v[18:19], v[30:31] op_sel_hi:[1,0,1]
	v_pk_mul_f32 v[2:3], v[2:3], v[26:27] op_sel:[0,1] op_sel_hi:[0,0] neg_hi:[0,1]
	v_pk_fma_f32 v[10:11], v[10:11], v[32:33], v[34:35] op_sel_hi:[1,0,1]
	v_pk_fma_f32 v[16:17], v[16:17], v[32:33], v[36:37] op_sel_hi:[1,0,1]
	v_pk_add_f32 v[4:5], v[22:23], v[4:5] neg_lo:[0,1] neg_hi:[0,1]
	v_pk_add_f32 v[20:21], v[28:29], v[20:21] neg_lo:[0,1] neg_hi:[0,1]
	v_pk_mul_f32 v[12:13], v[12:13], v[14:15] op_sel:[0,1] op_sel_hi:[0,0] neg_hi:[0,1]
	v_pk_fma_f32 v[2:3], v[26:27], v[18:19], v[2:3] op_sel_hi:[1,0,1] neg_lo:[1,0,0] neg_hi:[1,0,0]
	s_delay_alu instid0(VALU_DEP_4) | instskip(NEXT) | instid1(VALU_DEP_4)
	v_pk_add_f32 v[4:5], v[4:5], v[10:11] neg_lo:[0,1] neg_hi:[0,1]
	v_pk_add_f32 v[10:11], v[20:21], v[16:17] neg_lo:[0,1] neg_hi:[0,1]
	s_delay_alu instid0(VALU_DEP_4)
	v_pk_fma_f32 v[12:13], v[14:15], v[32:33], v[12:13] op_sel_hi:[1,0,1] neg_lo:[1,0,0] neg_hi:[1,0,0]
	ds_store_b64 v6, v[4:5]
	ds_store_b64 v8, v[10:11] offset:16384
	ds_store_b64 v8, v[2:3]
	ds_store_b64 v7, v[12:13]
	s_wait_dscnt 0x0
	s_barrier_signal -1
	s_barrier_wait -1
	ds_load_2addr_stride64_b64 v[2:5], v43 offset0:7 offset1:15
	ds_load_2addr_stride64_b64 v[10:13], v40 offset1:8
	ds_load_b64 v[18:19], v8
	ds_load_b64 v[20:21], v7
	v_add_min_i32_e64 v15, v0, 16, s1
	ds_load_b64 v[22:23], v6
	v_lshlrev_b32_e32 v41, 3, v15
	s_wait_dscnt 0x3
	v_dual_mul_f32 v9, v3, v3 :: v_dual_mul_f32 v30, v13, v13
	s_delay_alu instid0(VALU_DEP_1) | instskip(NEXT) | instid1(VALU_DEP_1)
	v_dual_fmac_f32 v9, v2, v2 :: v_dual_fmac_f32 v30, v12, v12
	v_div_scale_f32 v31, null, v9, v9, 1.0
	s_delay_alu instid0(VALU_DEP_2) | instskip(SKIP_1) | instid1(VALU_DEP_3)
	v_div_scale_f32 v32, null, v30, v30, 1.0
	v_div_scale_f32 v35, vcc_lo, 1.0, v9, 1.0
	v_rcp_f32_e32 v33, v31
	s_delay_alu instid0(VALU_DEP_2) | instskip(SKIP_1) | instid1(TRANS32_DEP_2)
	v_rcp_f32_e32 v34, v32
	v_div_scale_f32 v36, s0, 1.0, v30, 1.0
	v_fma_f32 v16, -v31, v33, 1.0
	v_max_i32_e32 v14, 16, v0
	s_delay_alu instid0(TRANS32_DEP_1) | instskip(NEXT) | instid1(VALU_DEP_2)
	v_fma_f32 v17, -v32, v34, 1.0
	v_dual_fmac_f32 v33, v16, v33 :: v_dual_lshlrev_b32 v38, 3, v14
	s_delay_alu instid0(VALU_DEP_2)
	v_fmac_f32_e32 v34, v17, v34
	v_subrev_nc_u32_e32 v14, 64, v39
	ds_load_b64 v[24:25], v39 offset:16320
	ds_load_b64 v[26:27], v14
	ds_load_b64 v[28:29], v8 offset:16384
	v_dual_mul_f32 v37, v35, v33 :: v_dual_mul_f32 v42, v36, v34
	s_wait_dscnt 0x5
	v_dual_mul_f32 v39, v3, v19 :: v_dual_mul_f32 v3, v3, -v18
	s_delay_alu instid0(VALU_DEP_2) | instskip(NEXT) | instid1(VALU_DEP_1)
	v_dual_fma_f32 v15, -v31, v37, v35 :: v_dual_fma_f32 v44, -v32, v42, v36
	v_dual_fmac_f32 v37, v15, v33 :: v_dual_fmac_f32 v42, v44, v34
	ds_load_2addr_stride64_b64 v[14:17], v40 offset0:16 offset1:32
	s_wait_dscnt 0x0
	s_barrier_signal -1
	v_dual_fma_f32 v31, -v31, v37, v35 :: v_dual_fma_f32 v32, -v32, v42, v36
	v_dual_mul_f32 v35, v13, -v20 :: v_dual_fmac_f32 v3, v19, v2
	v_mul_f32_e32 v13, v13, v21
	s_delay_alu instid0(VALU_DEP_3) | instskip(SKIP_1) | instid1(VALU_DEP_3)
	v_div_fmas_f32 v31, v31, v33, v37
	s_mov_b32 vcc_lo, s0
	v_fmac_f32_e32 v35, v21, v12
	v_div_fmas_f32 v32, v32, v34, v42
	v_fmac_f32_e32 v13, v20, v12
	v_div_fixup_f32 v9, v31, v9, 1.0
	v_add_nc_u32_e32 v43, 0x180, v38
	s_barrier_wait -1
	v_div_fixup_f32 v19, v32, v30, 1.0
	s_delay_alu instid0(VALU_DEP_3) | instskip(NEXT) | instid1(VALU_DEP_2)
	v_dual_fmac_f32 v39, v18, v2 :: v_dual_mul_f32 v2, v3, v9
	v_mul_f32_e32 v12, v35, v19
	s_delay_alu instid0(VALU_DEP_2) | instskip(NEXT) | instid1(VALU_DEP_3)
	v_dual_mul_f32 v18, v9, v39 :: v_dual_mul_f32 v32, v19, v13
	v_pk_mul_f32 v[20:21], v[2:3], v[4:5] op_sel:[0,1] op_sel_hi:[0,0] neg_lo:[0,1]
	v_pk_mul_f32 v[30:31], v[2:3], v[24:25] op_sel:[0,1] op_sel_hi:[0,0] neg_lo:[0,1]
	s_delay_alu instid0(VALU_DEP_4)
	v_pk_mul_f32 v[34:35], v[12:13], v[10:11] op_sel:[0,1] op_sel_hi:[0,0] neg_lo:[0,1]
	v_pk_mul_f32 v[36:37], v[12:13], v[16:17] op_sel:[0,1] op_sel_hi:[0,0] neg_lo:[0,1]
	v_pk_mul_f32 v[2:3], v[2:3], v[26:27] op_sel:[0,1] op_sel_hi:[0,0] neg_hi:[0,1]
	v_pk_fma_f32 v[4:5], v[4:5], v[18:19], v[20:21] op_sel_hi:[1,0,1]
	v_pk_fma_f32 v[20:21], v[24:25], v[18:19], v[30:31] op_sel_hi:[1,0,1]
	;; [unrolled: 1-line block ×4, first 2 shown]
	v_pk_mul_f32 v[12:13], v[12:13], v[14:15] op_sel:[0,1] op_sel_hi:[0,0] neg_hi:[0,1]
	v_pk_add_f32 v[4:5], v[22:23], v[4:5] neg_lo:[0,1] neg_hi:[0,1]
	v_pk_add_f32 v[20:21], v[28:29], v[20:21] neg_lo:[0,1] neg_hi:[0,1]
	v_pk_fma_f32 v[2:3], v[26:27], v[18:19], v[2:3] op_sel_hi:[1,0,1] neg_lo:[1,0,0] neg_hi:[1,0,0]
	s_delay_alu instid0(VALU_DEP_4) | instskip(NEXT) | instid1(VALU_DEP_4)
	v_pk_fma_f32 v[12:13], v[14:15], v[32:33], v[12:13] op_sel_hi:[1,0,1] neg_lo:[1,0,0] neg_hi:[1,0,0]
	v_pk_add_f32 v[4:5], v[4:5], v[10:11] neg_lo:[0,1] neg_hi:[0,1]
	s_delay_alu instid0(VALU_DEP_4)
	v_pk_add_f32 v[10:11], v[20:21], v[16:17] neg_lo:[0,1] neg_hi:[0,1]
	ds_store_b64 v6, v[4:5]
	ds_store_b64 v8, v[10:11] offset:16384
	ds_store_b64 v8, v[2:3]
	ds_store_b64 v7, v[12:13]
	s_wait_dscnt 0x0
	s_barrier_signal -1
	s_barrier_wait -1
	ds_load_2addr_stride64_b64 v[2:5], v43 offset0:7 offset1:15
	ds_load_2addr_stride64_b64 v[10:13], v41 offset1:8
	ds_load_b64 v[18:19], v8
	ds_load_b64 v[20:21], v7
	v_add_min_i32_e64 v15, v0, 32, s1
	ds_load_b64 v[22:23], v6
	v_lshlrev_b32_e32 v40, 3, v15
	s_wait_dscnt 0x3
	v_dual_mul_f32 v9, v3, v3 :: v_dual_mul_f32 v30, v13, v13
	s_delay_alu instid0(VALU_DEP_1) | instskip(NEXT) | instid1(VALU_DEP_1)
	v_dual_fmac_f32 v9, v2, v2 :: v_dual_fmac_f32 v30, v12, v12
	v_div_scale_f32 v31, null, v9, v9, 1.0
	s_delay_alu instid0(VALU_DEP_2) | instskip(SKIP_1) | instid1(VALU_DEP_3)
	v_div_scale_f32 v32, null, v30, v30, 1.0
	v_div_scale_f32 v35, vcc_lo, 1.0, v9, 1.0
	v_rcp_f32_e32 v33, v31
	s_delay_alu instid0(VALU_DEP_2) | instskip(SKIP_1) | instid1(TRANS32_DEP_2)
	v_rcp_f32_e32 v34, v32
	v_div_scale_f32 v36, s0, 1.0, v30, 1.0
	v_fma_f32 v16, -v31, v33, 1.0
	v_max_i32_e32 v14, 32, v0
	s_delay_alu instid0(TRANS32_DEP_1) | instskip(NEXT) | instid1(VALU_DEP_2)
	v_fma_f32 v17, -v32, v34, 1.0
	v_dual_fmac_f32 v33, v16, v33 :: v_dual_lshlrev_b32 v39, 3, v14
	s_delay_alu instid0(VALU_DEP_1) | instskip(NEXT) | instid1(VALU_DEP_1)
	v_dual_fmac_f32 v34, v17, v34 :: v_dual_mul_f32 v37, v35, v33
	v_dual_mul_f32 v42, v36, v34 :: v_dual_add_nc_u32 v43, 0x100, v39
	s_delay_alu instid0(VALU_DEP_1) | instskip(NEXT) | instid1(VALU_DEP_1)
	v_dual_fma_f32 v15, -v31, v37, v35 :: v_dual_fma_f32 v44, -v32, v42, v36
	v_dual_fmac_f32 v37, v15, v33 :: v_dual_add_nc_u32 v14, 0xffffff80, v38
	ds_load_b64 v[24:25], v38 offset:16256
	ds_load_b64 v[26:27], v14
	ds_load_b64 v[28:29], v8 offset:16384
	s_wait_dscnt 0x5
	v_dual_fmac_f32 v42, v44, v34 :: v_dual_mul_f32 v38, v3, v19
	v_fma_f32 v31, -v31, v37, v35
	s_wait_dscnt 0x4
	v_dual_mul_f32 v3, v3, -v18 :: v_dual_mul_f32 v35, v13, -v20
	s_delay_alu instid0(VALU_DEP_3)
	v_fma_f32 v32, -v32, v42, v36
	ds_load_2addr_stride64_b64 v[14:17], v41 offset0:16 offset1:32
	v_div_fmas_f32 v31, v31, v33, v37
	s_mov_b32 vcc_lo, s0
	v_dual_fmac_f32 v3, v19, v2 :: v_dual_mul_f32 v13, v13, v21
	v_div_fmas_f32 v32, v32, v34, v42
	s_delay_alu instid0(VALU_DEP_3) | instskip(SKIP_1) | instid1(VALU_DEP_4)
	v_div_fixup_f32 v9, v31, v9, 1.0
	v_dual_fmac_f32 v35, v21, v12 :: v_dual_fmac_f32 v38, v18, v2
	v_fmac_f32_e32 v13, v20, v12
	s_delay_alu instid0(VALU_DEP_4) | instskip(NEXT) | instid1(VALU_DEP_4)
	v_div_fixup_f32 v19, v32, v30, 1.0
	v_mul_f32_e32 v2, v3, v9
	s_wait_dscnt 0x0
	v_mul_f32_e32 v18, v9, v38
	s_barrier_signal -1
	v_mul_f32_e32 v12, v35, v19
	v_pk_mul_f32 v[20:21], v[2:3], v[4:5] op_sel:[0,1] op_sel_hi:[0,0] neg_lo:[0,1]
	v_pk_mul_f32 v[30:31], v[2:3], v[24:25] op_sel:[0,1] op_sel_hi:[0,0] neg_lo:[0,1]
	v_mul_f32_e32 v32, v19, v13
	v_pk_mul_f32 v[2:3], v[2:3], v[26:27] op_sel:[0,1] op_sel_hi:[0,0] neg_hi:[0,1]
	v_pk_mul_f32 v[34:35], v[12:13], v[10:11] op_sel:[0,1] op_sel_hi:[0,0] neg_lo:[0,1]
	v_pk_fma_f32 v[4:5], v[4:5], v[18:19], v[20:21] op_sel_hi:[1,0,1]
	v_pk_mul_f32 v[36:37], v[12:13], v[16:17] op_sel:[0,1] op_sel_hi:[0,0] neg_lo:[0,1]
	v_pk_fma_f32 v[20:21], v[24:25], v[18:19], v[30:31] op_sel_hi:[1,0,1]
	v_pk_mul_f32 v[12:13], v[12:13], v[14:15] op_sel:[0,1] op_sel_hi:[0,0] neg_hi:[0,1]
	v_pk_fma_f32 v[10:11], v[10:11], v[32:33], v[34:35] op_sel_hi:[1,0,1]
	v_pk_add_f32 v[4:5], v[22:23], v[4:5] neg_lo:[0,1] neg_hi:[0,1]
	v_pk_fma_f32 v[16:17], v[16:17], v[32:33], v[36:37] op_sel_hi:[1,0,1]
	v_pk_add_f32 v[20:21], v[28:29], v[20:21] neg_lo:[0,1] neg_hi:[0,1]
	v_pk_fma_f32 v[2:3], v[26:27], v[18:19], v[2:3] op_sel_hi:[1,0,1] neg_lo:[1,0,0] neg_hi:[1,0,0]
	v_pk_fma_f32 v[12:13], v[14:15], v[32:33], v[12:13] op_sel_hi:[1,0,1] neg_lo:[1,0,0] neg_hi:[1,0,0]
	v_pk_add_f32 v[4:5], v[4:5], v[10:11] neg_lo:[0,1] neg_hi:[0,1]
	s_barrier_wait -1
	v_pk_add_f32 v[10:11], v[20:21], v[16:17] neg_lo:[0,1] neg_hi:[0,1]
	ds_store_b64 v6, v[4:5]
	ds_store_b64 v8, v[10:11] offset:16384
	ds_store_b64 v8, v[2:3]
	ds_store_b64 v7, v[12:13]
	s_wait_dscnt 0x0
	s_barrier_signal -1
	s_barrier_wait -1
	ds_load_2addr_stride64_b64 v[2:5], v43 offset0:7 offset1:15
	ds_load_2addr_stride64_b64 v[10:13], v40 offset1:8
	v_max_i32_e32 v14, 64, v0
	ds_load_b64 v[18:19], v8
	ds_load_b64 v[20:21], v7
	;; [unrolled: 1-line block ×3, first 2 shown]
	s_wait_dscnt 0x3
	v_dual_mul_f32 v30, v13, v13 :: v_dual_mul_f32 v9, v3, v3
	s_delay_alu instid0(VALU_DEP_1) | instskip(NEXT) | instid1(VALU_DEP_1)
	v_dual_fmac_f32 v30, v12, v12 :: v_dual_fmac_f32 v9, v2, v2
	v_div_scale_f32 v32, null, v30, v30, 1.0
	s_delay_alu instid0(VALU_DEP_2) | instskip(SKIP_1) | instid1(VALU_DEP_3)
	v_div_scale_f32 v31, null, v9, v9, 1.0
	v_div_scale_f32 v35, vcc_lo, 1.0, v9, 1.0
	v_rcp_f32_e32 v34, v32
	s_delay_alu instid0(VALU_DEP_2) | instskip(SKIP_1) | instid1(TRANS32_DEP_2)
	v_rcp_f32_e32 v33, v31
	v_div_scale_f32 v36, s0, 1.0, v30, 1.0
	v_fma_f32 v16, -v32, v34, 1.0
	s_delay_alu instid0(TRANS32_DEP_1) | instskip(NEXT) | instid1(VALU_DEP_1)
	v_fma_f32 v15, -v31, v33, 1.0
	v_dual_fmac_f32 v34, v16, v34 :: v_dual_fmac_f32 v33, v15, v33
	v_add_min_i32_e64 v15, v0, 64, s1
	v_lshlrev_b32_e32 v38, 3, v14
	s_delay_alu instid0(VALU_DEP_3) | instskip(NEXT) | instid1(VALU_DEP_1)
	v_dual_mul_f32 v41, v36, v34 :: v_dual_mul_f32 v37, v35, v33
	v_dual_lshlrev_b32 v42, 3, v15 :: v_dual_fma_f32 v43, -v32, v41, v36
	s_delay_alu instid0(VALU_DEP_2) | instskip(NEXT) | instid1(VALU_DEP_1)
	v_fma_f32 v15, -v31, v37, v35
	v_dual_fmac_f32 v37, v15, v33 :: v_dual_add_nc_u32 v14, 0xffffff00, v39
	ds_load_b64 v[24:25], v39 offset:16128
	ds_load_b64 v[26:27], v14
	ds_load_b64 v[28:29], v8 offset:16384
	s_wait_dscnt 0x5
	v_mul_f32_e32 v39, v3, v19
	v_fmac_f32_e32 v41, v43, v34
	ds_load_2addr_stride64_b64 v[14:17], v40 offset0:16 offset1:32
	s_wait_dscnt 0x5
	v_dual_fma_f32 v31, -v31, v37, v35 :: v_dual_mul_f32 v35, v13, -v20
	v_dual_mul_f32 v3, v3, -v18 :: v_dual_fma_f32 v32, -v32, v41, v36
	v_mul_f32_e32 v13, v13, v21
	s_delay_alu instid0(VALU_DEP_3) | instskip(SKIP_1) | instid1(VALU_DEP_3)
	v_div_fmas_f32 v31, v31, v33, v37
	s_mov_b32 vcc_lo, s0
	v_fmac_f32_e32 v3, v19, v2
	v_div_fmas_f32 v32, v32, v34, v41
	v_dual_fmac_f32 v39, v18, v2 :: v_dual_fmac_f32 v13, v20, v12
	v_div_fixup_f32 v9, v31, v9, 1.0
	v_fmac_f32_e32 v35, v21, v12
	s_delay_alu instid0(VALU_DEP_4) | instskip(SKIP_3) | instid1(VALU_DEP_2)
	v_div_fixup_f32 v19, v32, v30, 1.0
	s_wait_dscnt 0x0
	s_barrier_signal -1
	v_dual_mul_f32 v2, v3, v9 :: v_dual_mul_f32 v18, v9, v39
	v_mul_f32_e32 v32, v19, v13
	v_mul_f32_e32 v12, v35, v19
	s_barrier_wait -1
	s_delay_alu instid0(VALU_DEP_3)
	v_pk_mul_f32 v[20:21], v[2:3], v[4:5] op_sel:[0,1] op_sel_hi:[0,0] neg_lo:[0,1]
	v_pk_mul_f32 v[30:31], v[2:3], v[24:25] op_sel:[0,1] op_sel_hi:[0,0] neg_lo:[0,1]
	v_pk_mul_f32 v[2:3], v[2:3], v[26:27] op_sel:[0,1] op_sel_hi:[0,0] neg_hi:[0,1]
	v_pk_mul_f32 v[34:35], v[12:13], v[10:11] op_sel:[0,1] op_sel_hi:[0,0] neg_lo:[0,1]
	v_pk_mul_f32 v[36:37], v[12:13], v[16:17] op_sel:[0,1] op_sel_hi:[0,0] neg_lo:[0,1]
	v_pk_fma_f32 v[4:5], v[4:5], v[18:19], v[20:21] op_sel_hi:[1,0,1]
	v_pk_fma_f32 v[20:21], v[24:25], v[18:19], v[30:31] op_sel_hi:[1,0,1]
	v_pk_mul_f32 v[12:13], v[12:13], v[14:15] op_sel:[0,1] op_sel_hi:[0,0] neg_hi:[0,1]
	v_pk_fma_f32 v[10:11], v[10:11], v[32:33], v[34:35] op_sel_hi:[1,0,1]
	v_pk_fma_f32 v[16:17], v[16:17], v[32:33], v[36:37] op_sel_hi:[1,0,1]
	v_pk_add_f32 v[4:5], v[22:23], v[4:5] neg_lo:[0,1] neg_hi:[0,1]
	v_pk_add_f32 v[20:21], v[28:29], v[20:21] neg_lo:[0,1] neg_hi:[0,1]
	v_pk_fma_f32 v[2:3], v[26:27], v[18:19], v[2:3] op_sel_hi:[1,0,1] neg_lo:[1,0,0] neg_hi:[1,0,0]
	v_pk_fma_f32 v[12:13], v[14:15], v[32:33], v[12:13] op_sel_hi:[1,0,1] neg_lo:[1,0,0] neg_hi:[1,0,0]
	s_delay_alu instid0(VALU_DEP_4) | instskip(NEXT) | instid1(VALU_DEP_4)
	v_pk_add_f32 v[4:5], v[4:5], v[10:11] neg_lo:[0,1] neg_hi:[0,1]
	v_pk_add_f32 v[10:11], v[20:21], v[16:17] neg_lo:[0,1] neg_hi:[0,1]
	ds_store_b64 v6, v[4:5]
	ds_store_b64 v8, v[10:11] offset:16384
	ds_store_b64 v8, v[2:3]
	ds_store_b64 v7, v[12:13]
	s_wait_dscnt 0x0
	s_barrier_signal -1
	s_barrier_wait -1
	ds_load_2addr_stride64_b64 v[2:5], v38 offset0:7 offset1:15
	ds_load_2addr_stride64_b64 v[10:13], v42 offset1:8
	v_max_i32_e32 v14, 0x80, v0
	ds_load_b64 v[18:19], v8
	ds_load_b64 v[20:21], v7
	ds_load_b64 v[22:23], v6
	s_wait_dscnt 0x3
	v_dual_mul_f32 v30, v13, v13 :: v_dual_mul_f32 v9, v3, v3
	s_delay_alu instid0(VALU_DEP_1) | instskip(NEXT) | instid1(VALU_DEP_1)
	v_dual_fmac_f32 v30, v12, v12 :: v_dual_fmac_f32 v9, v2, v2
	v_div_scale_f32 v32, null, v30, v30, 1.0
	s_delay_alu instid0(VALU_DEP_2) | instskip(SKIP_1) | instid1(VALU_DEP_3)
	v_div_scale_f32 v31, null, v9, v9, 1.0
	v_div_scale_f32 v35, vcc_lo, 1.0, v9, 1.0
	v_rcp_f32_e32 v34, v32
	s_delay_alu instid0(VALU_DEP_2) | instskip(SKIP_1) | instid1(TRANS32_DEP_2)
	v_rcp_f32_e32 v33, v31
	v_div_scale_f32 v36, s0, 1.0, v30, 1.0
	v_fma_f32 v16, -v32, v34, 1.0
	s_delay_alu instid0(TRANS32_DEP_1) | instskip(NEXT) | instid1(VALU_DEP_1)
	v_fma_f32 v15, -v31, v33, 1.0
	v_dual_fmac_f32 v34, v16, v34 :: v_dual_fmac_f32 v33, v15, v33
	v_add_min_i32_e64 v15, 0x80, v0, s1
	v_lshlrev_b32_e32 v39, 3, v14
	v_cmp_gt_u32_e64 s1, 0x100, v0
	s_delay_alu instid0(VALU_DEP_4) | instskip(NEXT) | instid1(VALU_DEP_1)
	v_dual_mul_f32 v40, v36, v34 :: v_dual_mul_f32 v37, v35, v33
	v_dual_lshlrev_b32 v41, 3, v15 :: v_dual_fma_f32 v43, -v32, v40, v36
	s_delay_alu instid0(VALU_DEP_2) | instskip(SKIP_1) | instid1(VALU_DEP_3)
	v_fma_f32 v15, -v31, v37, v35
	v_add_nc_u32_e32 v14, 0xfffffe00, v38
	v_fmac_f32_e32 v40, v43, v34
	s_delay_alu instid0(VALU_DEP_3)
	v_fmac_f32_e32 v37, v15, v33
	ds_load_b64 v[24:25], v38 offset:15872
	ds_load_b64 v[26:27], v14
	ds_load_b64 v[28:29], v8 offset:16384
	s_wait_dscnt 0x5
	v_dual_mul_f32 v38, v3, v19 :: v_dual_mul_f32 v3, v3, -v18
	ds_load_2addr_stride64_b64 v[14:17], v42 offset0:16 offset1:32
	s_wait_dscnt 0x5
	v_dual_fma_f32 v31, -v31, v37, v35 :: v_dual_mul_f32 v35, v13, -v20
	v_dual_fma_f32 v32, -v32, v40, v36 :: v_dual_fmac_f32 v3, v19, v2
	v_mul_f32_e32 v13, v13, v21
	s_delay_alu instid0(VALU_DEP_3) | instskip(SKIP_3) | instid1(VALU_DEP_3)
	v_div_fmas_f32 v31, v31, v33, v37
	s_mov_b32 vcc_lo, s0
	v_dual_fmac_f32 v35, v21, v12 :: v_dual_fmac_f32 v38, v18, v2
	v_div_fmas_f32 v32, v32, v34, v40
	v_div_fixup_f32 v9, v31, v9, 1.0
	v_fmac_f32_e32 v13, v20, v12
	s_wait_dscnt 0x0
	s_barrier_signal -1
	v_div_fixup_f32 v19, v32, v30, 1.0
	v_dual_mul_f32 v2, v3, v9 :: v_dual_mul_f32 v18, v9, v38
	s_barrier_wait -1
	s_delay_alu instid0(VALU_DEP_2) | instskip(NEXT) | instid1(VALU_DEP_2)
	v_mul_f32_e32 v12, v35, v19
	v_pk_mul_f32 v[20:21], v[2:3], v[4:5] op_sel:[0,1] op_sel_hi:[0,0] neg_lo:[0,1]
	v_pk_mul_f32 v[30:31], v[2:3], v[24:25] op_sel:[0,1] op_sel_hi:[0,0] neg_lo:[0,1]
	v_mul_f32_e32 v32, v19, v13
	v_pk_mul_f32 v[2:3], v[2:3], v[26:27] op_sel:[0,1] op_sel_hi:[0,0] neg_hi:[0,1]
	v_pk_mul_f32 v[34:35], v[12:13], v[10:11] op_sel:[0,1] op_sel_hi:[0,0] neg_lo:[0,1]
	v_pk_fma_f32 v[4:5], v[4:5], v[18:19], v[20:21] op_sel_hi:[1,0,1]
	v_pk_mul_f32 v[36:37], v[12:13], v[16:17] op_sel:[0,1] op_sel_hi:[0,0] neg_lo:[0,1]
	v_pk_fma_f32 v[20:21], v[24:25], v[18:19], v[30:31] op_sel_hi:[1,0,1]
	v_pk_mul_f32 v[12:13], v[12:13], v[14:15] op_sel:[0,1] op_sel_hi:[0,0] neg_hi:[0,1]
	v_pk_fma_f32 v[10:11], v[10:11], v[32:33], v[34:35] op_sel_hi:[1,0,1]
	v_pk_add_f32 v[4:5], v[22:23], v[4:5] neg_lo:[0,1] neg_hi:[0,1]
	v_pk_fma_f32 v[16:17], v[16:17], v[32:33], v[36:37] op_sel_hi:[1,0,1]
	v_pk_add_f32 v[20:21], v[28:29], v[20:21] neg_lo:[0,1] neg_hi:[0,1]
	v_pk_fma_f32 v[2:3], v[26:27], v[18:19], v[2:3] op_sel_hi:[1,0,1] neg_lo:[1,0,0] neg_hi:[1,0,0]
	v_pk_fma_f32 v[12:13], v[14:15], v[32:33], v[12:13] op_sel_hi:[1,0,1] neg_lo:[1,0,0] neg_hi:[1,0,0]
	v_pk_add_f32 v[4:5], v[4:5], v[10:11] neg_lo:[0,1] neg_hi:[0,1]
	s_delay_alu instid0(VALU_DEP_4)
	v_pk_add_f32 v[10:11], v[20:21], v[16:17] neg_lo:[0,1] neg_hi:[0,1]
	ds_store_b64 v6, v[4:5]
	ds_store_b64 v8, v[10:11] offset:16384
	ds_store_b64 v8, v[2:3]
	ds_store_b64 v7, v[12:13]
	s_wait_dscnt 0x0
	s_barrier_signal -1
	s_barrier_wait -1
	ds_load_2addr_stride64_b64 v[2:5], v39 offset0:6 offset1:14
	ds_load_2addr_stride64_b64 v[10:13], v41 offset1:8
	ds_load_b64 v[18:19], v8
	ds_load_b64 v[20:21], v7
	;; [unrolled: 1-line block ×3, first 2 shown]
	s_wait_dscnt 0x3
	v_dual_mul_f32 v30, v13, v13 :: v_dual_mul_f32 v9, v3, v3
	s_delay_alu instid0(VALU_DEP_1) | instskip(NEXT) | instid1(VALU_DEP_1)
	v_dual_fmac_f32 v30, v12, v12 :: v_dual_fmac_f32 v9, v2, v2
	v_div_scale_f32 v32, null, v30, v30, 1.0
	s_delay_alu instid0(VALU_DEP_2) | instskip(SKIP_1) | instid1(VALU_DEP_3)
	v_div_scale_f32 v31, null, v9, v9, 1.0
	v_div_scale_f32 v35, vcc_lo, 1.0, v9, 1.0
	v_rcp_f32_e32 v34, v32
	s_delay_alu instid0(VALU_DEP_2) | instskip(SKIP_1) | instid1(TRANS32_DEP_2)
	v_rcp_f32_e32 v33, v31
	v_div_scale_f32 v36, s0, 1.0, v30, 1.0
	v_fma_f32 v15, -v32, v34, 1.0
	s_delay_alu instid0(TRANS32_DEP_1) | instskip(NEXT) | instid1(VALU_DEP_1)
	v_fma_f32 v14, -v31, v33, 1.0
	v_dual_fmac_f32 v34, v15, v34 :: v_dual_fmac_f32 v33, v14, v33
	s_delay_alu instid0(VALU_DEP_1) | instskip(NEXT) | instid1(VALU_DEP_1)
	v_dual_mul_f32 v37, v35, v33 :: v_dual_mul_f32 v38, v36, v34
	v_fma_f32 v15, -v31, v37, v35
	v_add_nc_u32_e32 v14, 0xfffffc00, v39
	s_delay_alu instid0(VALU_DEP_2)
	v_dual_fma_f32 v40, -v32, v38, v36 :: v_dual_fmac_f32 v37, v15, v33
	ds_load_b64 v[24:25], v39 offset:15360
	ds_load_b64 v[26:27], v14
	ds_load_b64 v[28:29], v8 offset:16384
	s_wait_dscnt 0x5
	v_dual_mul_f32 v39, v3, v19 :: v_dual_fmac_f32 v38, v40, v34
	v_mul_f32_e64 v3, v3, -v18
	v_fma_f32 v31, -v31, v37, v35
	ds_load_2addr_stride64_b64 v[14:17], v41 offset0:16 offset1:32
	s_wait_dscnt 0x5
	v_dual_mul_f32 v35, v13, -v20 :: v_dual_fma_f32 v32, -v32, v38, v36
	v_mul_f32_e32 v13, v13, v21
	v_div_fmas_f32 v31, v31, v33, v37
	s_mov_b32 vcc_lo, s0
	v_fmac_f32_e32 v3, v19, v2
	v_div_fmas_f32 v32, v32, v34, v38
	v_fmac_f32_e32 v13, v20, v12
	v_div_fixup_f32 v9, v31, v9, 1.0
	v_fmac_f32_e32 v35, v21, v12
	s_wait_dscnt 0x0
	v_div_fixup_f32 v19, v32, v30, 1.0
	s_delay_alu instid0(VALU_DEP_3) | instskip(SKIP_2) | instid1(VALU_DEP_2)
	v_dual_fmac_f32 v39, v18, v2 :: v_dual_mul_f32 v2, v3, v9
	s_barrier_signal -1
	s_barrier_wait -1
	v_mul_f32_e32 v12, v35, v19
	s_delay_alu instid0(VALU_DEP_2) | instskip(SKIP_2) | instid1(VALU_DEP_4)
	v_dual_mul_f32 v18, v9, v39 :: v_dual_mul_f32 v32, v19, v13
	v_pk_mul_f32 v[20:21], v[2:3], v[4:5] op_sel:[0,1] op_sel_hi:[0,0] neg_lo:[0,1]
	v_pk_mul_f32 v[30:31], v[2:3], v[24:25] op_sel:[0,1] op_sel_hi:[0,0] neg_lo:[0,1]
	v_pk_mul_f32 v[34:35], v[12:13], v[10:11] op_sel:[0,1] op_sel_hi:[0,0] neg_lo:[0,1]
	v_pk_mul_f32 v[36:37], v[12:13], v[16:17] op_sel:[0,1] op_sel_hi:[0,0] neg_lo:[0,1]
	v_pk_mul_f32 v[2:3], v[2:3], v[26:27] op_sel:[0,1] op_sel_hi:[0,0] neg_hi:[0,1]
	v_pk_fma_f32 v[4:5], v[4:5], v[18:19], v[20:21] op_sel_hi:[1,0,1]
	v_pk_fma_f32 v[20:21], v[24:25], v[18:19], v[30:31] op_sel_hi:[1,0,1]
	;; [unrolled: 1-line block ×4, first 2 shown]
	v_pk_mul_f32 v[12:13], v[12:13], v[14:15] op_sel:[0,1] op_sel_hi:[0,0] neg_hi:[0,1]
	v_pk_add_f32 v[4:5], v[22:23], v[4:5] neg_lo:[0,1] neg_hi:[0,1]
	v_pk_add_f32 v[20:21], v[28:29], v[20:21] neg_lo:[0,1] neg_hi:[0,1]
	v_pk_fma_f32 v[2:3], v[26:27], v[18:19], v[2:3] op_sel_hi:[1,0,1] neg_lo:[1,0,0] neg_hi:[1,0,0]
	s_delay_alu instid0(VALU_DEP_4) | instskip(NEXT) | instid1(VALU_DEP_4)
	v_pk_fma_f32 v[12:13], v[14:15], v[32:33], v[12:13] op_sel_hi:[1,0,1] neg_lo:[1,0,0] neg_hi:[1,0,0]
	v_pk_add_f32 v[4:5], v[4:5], v[10:11] neg_lo:[0,1] neg_hi:[0,1]
	s_delay_alu instid0(VALU_DEP_4)
	v_pk_add_f32 v[10:11], v[20:21], v[16:17] neg_lo:[0,1] neg_hi:[0,1]
	ds_store_b64 v6, v[4:5]
	ds_store_b64 v8, v[10:11] offset:16384
	ds_store_b64 v8, v[2:3]
	ds_store_b64 v7, v[12:13]
	s_wait_dscnt 0x0
	s_barrier_signal -1
	s_barrier_wait -1
	s_and_saveexec_b32 s0, s1
	s_cbranch_execz .LBB58_14
; %bb.9:
	v_or_b32_e32 v4, 0x100, v0
	v_or_b32_e32 v5, 0x4000, v8
	s_mov_b32 s1, exec_lo
                                        ; implicit-def: $vgpr2_vgpr3
	s_delay_alu instid0(VALU_DEP_2)
	v_cmpx_le_i32_e64 s3, v4
	s_xor_b32 s1, exec_lo, s1
	s_cbranch_execz .LBB58_11
; %bb.10:
	ds_load_b64 v[2:3], v6
	s_wait_dscnt 0x0
	v_mul_f32_e32 v9, v3, v3
	s_delay_alu instid0(VALU_DEP_1) | instskip(NEXT) | instid1(VALU_DEP_1)
	v_fmac_f32_e32 v9, v2, v2
	v_div_scale_f32 v6, null, v9, v9, 1.0
	s_delay_alu instid0(VALU_DEP_1) | instskip(SKIP_1) | instid1(TRANS32_DEP_1)
	v_rcp_f32_e32 v7, v6
	v_nop
	v_fma_f32 v4, -v6, v7, 1.0
	s_delay_alu instid0(VALU_DEP_1) | instskip(SKIP_3) | instid1(VALU_DEP_1)
	v_fmac_f32_e32 v7, v4, v7
	v_div_scale_f32 v10, vcc_lo, 1.0, v9, 1.0
	ds_load_b64 v[4:5], v5
	v_mul_f32_e32 v11, v10, v7
	v_fma_f32 v12, -v6, v11, v10
	s_delay_alu instid0(VALU_DEP_1) | instskip(NEXT) | instid1(VALU_DEP_1)
	v_fmac_f32_e32 v11, v12, v7
	v_fma_f32 v6, -v6, v11, v10
	s_delay_alu instid0(VALU_DEP_1) | instskip(SKIP_2) | instid1(VALU_DEP_2)
	v_div_fmas_f32 v10, v6, v7, v11
	s_wait_dscnt 0x0
	v_pk_mul_f32 v[6:7], v[2:3], v[4:5] op_sel:[1,1] op_sel_hi:[1,0] neg_hi:[0,1]
	v_div_fixup_f32 v10, v10, v9, 1.0
	s_delay_alu instid0(VALU_DEP_2) | instskip(NEXT) | instid1(VALU_DEP_1)
	v_pk_fma_f32 v[2:3], v[4:5], v[2:3], v[6:7] op_sel_hi:[1,0,1]
                                        ; implicit-def: $vgpr6
                                        ; implicit-def: $vgpr7
                                        ; implicit-def: $vgpr5
                                        ; implicit-def: $vgpr4
	v_pk_mul_f32 v[2:3], v[10:11], v[2:3] op_sel_hi:[0,1]
.LBB58_11:
	s_and_not1_saveexec_b32 s1, s1
	s_cbranch_execz .LBB58_13
; %bb.12:
	ds_load_2addr_stride64_b64 v[10:13], v6 offset1:4
	ds_load_b64 v[2:3], v7
	ds_load_b32 v0, v5
	ds_load_b64 v[6:7], v5
	ds_load_b64 v[14:15], v8 offset:2048
	s_wait_dscnt 0x4
	v_pk_mul_f32 v[16:17], v[10:11], v[12:13] op_sel:[1,1] op_sel_hi:[1,0] neg_lo:[0,1]
	s_wait_dscnt 0x0
	v_pk_mul_f32 v[18:19], v[14:15], v[2:3] op_sel:[1,1] op_sel_hi:[1,0] neg_lo:[0,1]
	s_delay_alu instid0(VALU_DEP_2) | instskip(SKIP_1) | instid1(VALU_DEP_3)
	v_pk_fma_f32 v[16:17], v[12:13], v[10:11], v[16:17] op_sel_hi:[1,0,1]
	v_pk_mul_f32 v[28:29], v[14:15], v[6:7] op_sel:[1,1] op_sel_hi:[1,0] neg_lo:[0,1]
	v_pk_fma_f32 v[18:19], v[2:3], v[14:15], v[18:19] op_sel_hi:[1,0,1]
	s_delay_alu instid0(VALU_DEP_2) | instskip(NEXT) | instid1(VALU_DEP_2)
	v_pk_fma_f32 v[6:7], v[6:7], v[14:15], v[28:29] op_sel_hi:[1,0,1]
	v_pk_add_f32 v[16:17], v[16:17], v[18:19] neg_lo:[0,1] neg_hi:[0,1]
	ds_load_b32 v18, v5 offset:4
	ds_load_b32 v20, v5 offset:2052
	ds_load_b64 v[22:23], v5 offset:2048
	ds_load_b32 v24, v5 offset:2048
	v_mul_f32_e32 v9, v17, v17
	s_delay_alu instid0(VALU_DEP_1) | instskip(NEXT) | instid1(VALU_DEP_1)
	v_fmac_f32_e32 v9, v16, v16
	v_div_scale_f32 v25, null, v9, v9, 1.0
	v_div_scale_f32 v26, vcc_lo, 1.0, v9, 1.0
	s_delay_alu instid0(VALU_DEP_2) | instskip(SKIP_3) | instid1(VALU_DEP_1)
	v_rcp_f32_e32 v30, v25
	s_wait_dscnt 0x2
	v_pk_mul_f32 v[20:21], v[20:21], v[2:3] op_sel:[0,1] op_sel_hi:[0,0] neg_lo:[0,1]
	s_wait_dscnt 0x0
	v_pk_fma_f32 v[2:3], v[2:3], v[24:25], v[20:21] op_sel_hi:[1,0,1]
	s_delay_alu instid0(TRANS32_DEP_1) | instskip(NEXT) | instid1(VALU_DEP_1)
	v_fma_f32 v19, -v25, v30, 1.0
	v_fmac_f32_e32 v30, v19, v30
	v_pk_mul_f32 v[18:19], v[18:19], v[12:13] op_sel:[0,1] op_sel_hi:[0,0] neg_lo:[0,1]
	s_delay_alu instid0(VALU_DEP_2) | instskip(NEXT) | instid1(VALU_DEP_2)
	v_mul_f32_e32 v31, v26, v30
	v_pk_fma_f32 v[12:13], v[12:13], v[0:1], v[18:19] op_sel_hi:[1,0,1]
	v_fma_f32 v0, v16, 0, -v17
	s_delay_alu instid0(VALU_DEP_3) | instskip(NEXT) | instid1(VALU_DEP_3)
	v_fma_f32 v5, -v25, v31, v26
	v_pk_add_f32 v[2:3], v[12:13], v[2:3] neg_lo:[0,1] neg_hi:[0,1]
	s_delay_alu instid0(VALU_DEP_2) | instskip(NEXT) | instid1(VALU_DEP_1)
	v_fmac_f32_e32 v31, v5, v30
	v_fma_f32 v5, -v25, v31, v26
	v_pk_mul_f32 v[26:27], v[10:11], v[22:23] op_sel:[1,1] op_sel_hi:[1,0] neg_lo:[0,1]
	s_delay_alu instid0(VALU_DEP_2) | instskip(NEXT) | instid1(VALU_DEP_2)
	v_div_fmas_f32 v5, v5, v30, v31
	v_pk_fma_f32 v[10:11], v[22:23], v[10:11], v[26:27] op_sel_hi:[1,0,1]
	s_delay_alu instid0(VALU_DEP_2) | instskip(SKIP_1) | instid1(VALU_DEP_3)
	v_div_fixup_f32 v5, v5, v9, 1.0
	v_fma_f32 v9, 0, v17, v16
	v_pk_add_f32 v[6:7], v[10:11], v[6:7] neg_lo:[0,1] neg_hi:[0,1]
	s_delay_alu instid0(VALU_DEP_2) | instskip(NEXT) | instid1(VALU_DEP_1)
	v_dual_mul_f32 v0, v0, v5 :: v_dual_mul_f32 v10, v9, v5
	v_pk_mul_f32 v[12:13], v[0:1], v[2:3] op_sel:[0,1] op_sel_hi:[0,0] neg_lo:[0,1]
	s_delay_alu instid0(VALU_DEP_3) | instskip(SKIP_1) | instid1(VALU_DEP_3)
	v_pk_mul_f32 v[14:15], v[0:1], v[6:7] op_sel:[0,1] op_sel_hi:[0,0] neg_lo:[0,1]
	v_mov_b32_e32 v0, v4
	v_pk_fma_f32 v[12:13], v[2:3], v[10:11], v[12:13] op_sel_hi:[1,0,1]
	s_delay_alu instid0(VALU_DEP_3)
	v_pk_fma_f32 v[2:3], v[6:7], v[10:11], v[14:15] op_sel_hi:[1,0,1]
	ds_store_b64 v8, v[12:13] offset:12288
.LBB58_13:
	s_or_b32 exec_lo, exec_lo, s1
	v_lshlrev_b32_e32 v0, 3, v0
	ds_store_b64 v0, v[2:3] offset:12288
.LBB58_14:
	s_or_b32 exec_lo, exec_lo, s0
	s_wait_dscnt 0x0
	s_barrier_signal -1
	s_barrier_wait -1
	s_and_saveexec_b32 s0, s2
	s_cbranch_execz .LBB58_16
; %bb.15:
	ds_load_b64 v[2:3], v8 offset:12288
	s_wait_dscnt 0x0
	s_wait_kmcnt 0x0
	global_store_b64 v1, v[2:3], s[4:5] scale_offset
.LBB58_16:
	s_endpgm
	.section	.rodata,"a",@progbits
	.p2align	6, 0x0
	.amdhsa_kernel _ZN9rocsparseL44gtsv_nopivot_strided_batch_pcr_shared_kernelILj512E21rocsparse_complex_numIfEEEviiiPKT0_S5_S5_PS3_
		.amdhsa_group_segment_fixed_size 20480
		.amdhsa_private_segment_fixed_size 0
		.amdhsa_kernarg_size 48
		.amdhsa_user_sgpr_count 2
		.amdhsa_user_sgpr_dispatch_ptr 0
		.amdhsa_user_sgpr_queue_ptr 0
		.amdhsa_user_sgpr_kernarg_segment_ptr 1
		.amdhsa_user_sgpr_dispatch_id 0
		.amdhsa_user_sgpr_kernarg_preload_length 0
		.amdhsa_user_sgpr_kernarg_preload_offset 0
		.amdhsa_user_sgpr_private_segment_size 0
		.amdhsa_wavefront_size32 1
		.amdhsa_uses_dynamic_stack 0
		.amdhsa_enable_private_segment 0
		.amdhsa_system_sgpr_workgroup_id_x 1
		.amdhsa_system_sgpr_workgroup_id_y 0
		.amdhsa_system_sgpr_workgroup_id_z 0
		.amdhsa_system_sgpr_workgroup_info 0
		.amdhsa_system_vgpr_workitem_id 0
		.amdhsa_next_free_vgpr 45
		.amdhsa_next_free_sgpr 8
		.amdhsa_named_barrier_count 0
		.amdhsa_reserve_vcc 1
		.amdhsa_float_round_mode_32 0
		.amdhsa_float_round_mode_16_64 0
		.amdhsa_float_denorm_mode_32 3
		.amdhsa_float_denorm_mode_16_64 3
		.amdhsa_fp16_overflow 0
		.amdhsa_memory_ordered 1
		.amdhsa_forward_progress 1
		.amdhsa_inst_pref_size 44
		.amdhsa_round_robin_scheduling 0
		.amdhsa_exception_fp_ieee_invalid_op 0
		.amdhsa_exception_fp_denorm_src 0
		.amdhsa_exception_fp_ieee_div_zero 0
		.amdhsa_exception_fp_ieee_overflow 0
		.amdhsa_exception_fp_ieee_underflow 0
		.amdhsa_exception_fp_ieee_inexact 0
		.amdhsa_exception_int_div_zero 0
	.end_amdhsa_kernel
	.section	.text._ZN9rocsparseL44gtsv_nopivot_strided_batch_pcr_shared_kernelILj512E21rocsparse_complex_numIfEEEviiiPKT0_S5_S5_PS3_,"axG",@progbits,_ZN9rocsparseL44gtsv_nopivot_strided_batch_pcr_shared_kernelILj512E21rocsparse_complex_numIfEEEviiiPKT0_S5_S5_PS3_,comdat
.Lfunc_end58:
	.size	_ZN9rocsparseL44gtsv_nopivot_strided_batch_pcr_shared_kernelILj512E21rocsparse_complex_numIfEEEviiiPKT0_S5_S5_PS3_, .Lfunc_end58-_ZN9rocsparseL44gtsv_nopivot_strided_batch_pcr_shared_kernelILj512E21rocsparse_complex_numIfEEEviiiPKT0_S5_S5_PS3_
                                        ; -- End function
	.set _ZN9rocsparseL44gtsv_nopivot_strided_batch_pcr_shared_kernelILj512E21rocsparse_complex_numIfEEEviiiPKT0_S5_S5_PS3_.num_vgpr, 45
	.set _ZN9rocsparseL44gtsv_nopivot_strided_batch_pcr_shared_kernelILj512E21rocsparse_complex_numIfEEEviiiPKT0_S5_S5_PS3_.num_agpr, 0
	.set _ZN9rocsparseL44gtsv_nopivot_strided_batch_pcr_shared_kernelILj512E21rocsparse_complex_numIfEEEviiiPKT0_S5_S5_PS3_.numbered_sgpr, 8
	.set _ZN9rocsparseL44gtsv_nopivot_strided_batch_pcr_shared_kernelILj512E21rocsparse_complex_numIfEEEviiiPKT0_S5_S5_PS3_.num_named_barrier, 0
	.set _ZN9rocsparseL44gtsv_nopivot_strided_batch_pcr_shared_kernelILj512E21rocsparse_complex_numIfEEEviiiPKT0_S5_S5_PS3_.private_seg_size, 0
	.set _ZN9rocsparseL44gtsv_nopivot_strided_batch_pcr_shared_kernelILj512E21rocsparse_complex_numIfEEEviiiPKT0_S5_S5_PS3_.uses_vcc, 1
	.set _ZN9rocsparseL44gtsv_nopivot_strided_batch_pcr_shared_kernelILj512E21rocsparse_complex_numIfEEEviiiPKT0_S5_S5_PS3_.uses_flat_scratch, 0
	.set _ZN9rocsparseL44gtsv_nopivot_strided_batch_pcr_shared_kernelILj512E21rocsparse_complex_numIfEEEviiiPKT0_S5_S5_PS3_.has_dyn_sized_stack, 0
	.set _ZN9rocsparseL44gtsv_nopivot_strided_batch_pcr_shared_kernelILj512E21rocsparse_complex_numIfEEEviiiPKT0_S5_S5_PS3_.has_recursion, 0
	.set _ZN9rocsparseL44gtsv_nopivot_strided_batch_pcr_shared_kernelILj512E21rocsparse_complex_numIfEEEviiiPKT0_S5_S5_PS3_.has_indirect_call, 0
	.section	.AMDGPU.csdata,"",@progbits
; Kernel info:
; codeLenInByte = 5624
; TotalNumSgprs: 10
; NumVgprs: 45
; ScratchSize: 0
; MemoryBound: 0
; FloatMode: 240
; IeeeMode: 1
; LDSByteSize: 20480 bytes/workgroup (compile time only)
; SGPRBlocks: 0
; VGPRBlocks: 2
; NumSGPRsForWavesPerEU: 10
; NumVGPRsForWavesPerEU: 45
; NamedBarCnt: 0
; Occupancy: 16
; WaveLimiterHint : 0
; COMPUTE_PGM_RSRC2:SCRATCH_EN: 0
; COMPUTE_PGM_RSRC2:USER_SGPR: 2
; COMPUTE_PGM_RSRC2:TRAP_HANDLER: 0
; COMPUTE_PGM_RSRC2:TGID_X_EN: 1
; COMPUTE_PGM_RSRC2:TGID_Y_EN: 0
; COMPUTE_PGM_RSRC2:TGID_Z_EN: 0
; COMPUTE_PGM_RSRC2:TIDIG_COMP_CNT: 0
	.section	.text._ZN9rocsparseL49gtsv_nopivot_strided_batch_pcr_pow2_stage1_kernelILj256E21rocsparse_complex_numIfEEEviiiiPKT0_S5_S5_S5_PS3_S6_S6_S6_,"axG",@progbits,_ZN9rocsparseL49gtsv_nopivot_strided_batch_pcr_pow2_stage1_kernelILj256E21rocsparse_complex_numIfEEEviiiiPKT0_S5_S5_S5_PS3_S6_S6_S6_,comdat
	.globl	_ZN9rocsparseL49gtsv_nopivot_strided_batch_pcr_pow2_stage1_kernelILj256E21rocsparse_complex_numIfEEEviiiiPKT0_S5_S5_S5_PS3_S6_S6_S6_ ; -- Begin function _ZN9rocsparseL49gtsv_nopivot_strided_batch_pcr_pow2_stage1_kernelILj256E21rocsparse_complex_numIfEEEviiiiPKT0_S5_S5_S5_PS3_S6_S6_S6_
	.p2align	8
	.type	_ZN9rocsparseL49gtsv_nopivot_strided_batch_pcr_pow2_stage1_kernelILj256E21rocsparse_complex_numIfEEEviiiiPKT0_S5_S5_S5_PS3_S6_S6_S6_,@function
_ZN9rocsparseL49gtsv_nopivot_strided_batch_pcr_pow2_stage1_kernelILj256E21rocsparse_complex_numIfEEEviiiiPKT0_S5_S5_S5_PS3_S6_S6_S6_: ; @_ZN9rocsparseL49gtsv_nopivot_strided_batch_pcr_pow2_stage1_kernelILj256E21rocsparse_complex_numIfEEEviiiiPKT0_S5_S5_S5_PS3_S6_S6_S6_
; %bb.0:
	s_clause 0x2
	s_load_b64 s[2:3], s[0:1], 0x0
	s_load_b32 s17, s[0:1], 0xc
	s_load_b256 s[4:11], s[0:1], 0x10
	s_bfe_u32 s13, ttmp6, 0x4000c
	s_bfe_u32 s14, ttmp6, 0x40010
	s_add_co_i32 s13, s13, 1
	s_add_co_i32 s14, s14, 1
	s_and_b32 s12, ttmp6, 15
	s_bfe_u32 s15, ttmp6, 0x40004
	s_mul_i32 s13, ttmp9, s13
	s_mul_i32 s14, ttmp7, s14
	s_getreg_b32 s16, hwreg(HW_REG_IB_STS2, 6, 4)
	s_add_co_i32 s12, s12, s13
	s_add_co_i32 s15, s15, s14
	s_wait_kmcnt 0x0
	s_add_co_i32 s14, s3, -1
	s_cmp_eq_u32 s16, 0
	s_cselect_b32 s12, ttmp9, s12
	s_cselect_b32 s15, ttmp7, s15
	v_lshl_or_b32 v27, s12, 8, v0
	s_mul_i32 s12, s17, s15
	s_delay_alu instid0(SALU_CYCLE_1) | instskip(NEXT) | instid1(SALU_CYCLE_1)
	s_ashr_i32 s13, s12, 31
	s_lshl_b64 s[12:13], s[12:13], 3
	s_delay_alu instid0(VALU_DEP_1)
	v_subrev_nc_u32_e32 v0, s2, v27
	v_add_min_i32_e64 v25, v27, s2, s14
	s_add_nc_u64 s[6:7], s[6:7], s[12:13]
	s_add_nc_u64 s[8:9], s[8:9], s[12:13]
	;; [unrolled: 1-line block ×3, first 2 shown]
	v_max_i32_e32 v24, 0, v0
	s_add_nc_u64 s[10:11], s[10:11], s[12:13]
	s_mul_i32 s12, s3, s15
	s_clause 0x1
	global_load_b64 v[0:1], v24, s[6:7] scale_offset
	global_load_b64 v[2:3], v25, s[6:7] scale_offset
	s_clause 0x1
	global_load_b64 v[4:5], v27, s[8:9] scale_offset
	global_load_b64 v[6:7], v27, s[4:5] scale_offset
	s_clause 0x2
	global_load_b64 v[8:9], v24, s[10:11] scale_offset
	global_load_b64 v[10:11], v24, s[4:5] scale_offset
	global_load_b64 v[12:13], v24, s[8:9] scale_offset
	s_clause 0x1
	global_load_b64 v[14:15], v25, s[4:5] scale_offset
	global_load_b64 v[16:17], v25, s[10:11] scale_offset
	s_clause 0x1
	global_load_b64 v[18:19], v27, s[6:7] scale_offset
	global_load_b64 v[20:21], v27, s[10:11] scale_offset
	;; [unrolled: 1-line block ×3, first 2 shown]
	s_wait_xcnt 0x0
	s_load_b256 s[4:11], s[0:1], 0x30
	s_ashr_i32 s13, s12, 31
	s_wait_xcnt 0x0
	s_lshl_b64 s[0:1], s[12:13], 3
	s_wait_kmcnt 0x0
	s_add_nc_u64 s[6:7], s[6:7], s[0:1]
	s_add_nc_u64 s[8:9], s[8:9], s[0:1]
	s_wait_loadcnt 0xa
	v_dual_mul_f32 v25, v3, v3 :: v_dual_mul_f32 v24, v1, v1
	s_delay_alu instid0(VALU_DEP_1) | instskip(NEXT) | instid1(VALU_DEP_1)
	v_dual_fmac_f32 v25, v2, v2 :: v_dual_fmac_f32 v24, v0, v0
	v_div_scale_f32 v28, null, v25, v25, 1.0
	s_delay_alu instid0(VALU_DEP_2) | instskip(NEXT) | instid1(VALU_DEP_2)
	v_div_scale_f32 v26, null, v24, v24, 1.0
	v_rcp_f32_e32 v30, v28
	s_delay_alu instid0(VALU_DEP_1) | instskip(NEXT) | instid1(TRANS32_DEP_2)
	v_rcp_f32_e32 v29, v26
	v_fma_f32 v32, -v28, v30, 1.0
	s_delay_alu instid0(TRANS32_DEP_1) | instskip(NEXT) | instid1(VALU_DEP_1)
	v_fma_f32 v31, -v26, v29, 1.0
	v_fmac_f32_e32 v29, v31, v29
	v_div_scale_f32 v33, vcc_lo, 1.0, v24, 1.0
	v_div_scale_f32 v31, s2, 1.0, v25, 1.0
	s_delay_alu instid0(VALU_DEP_2) | instskip(NEXT) | instid1(VALU_DEP_1)
	v_dual_fmac_f32 v30, v32, v30 :: v_dual_mul_f32 v32, v33, v29
	v_dual_mul_f32 v34, v31, v30 :: v_dual_fma_f32 v35, -v26, v32, v33
	s_delay_alu instid0(VALU_DEP_1) | instskip(SKIP_3) | instid1(VALU_DEP_2)
	v_dual_fma_f32 v36, -v28, v34, v31 :: v_dual_fmac_f32 v32, v35, v29
	s_wait_loadcnt 0x9
	v_dual_mul_f32 v35, v3, -v4 :: v_dual_mul_f32 v3, v3, v5
	s_wait_loadcnt 0x8
	v_dual_fmac_f32 v34, v36, v30 :: v_dual_mul_f32 v36, v1, v7
	v_dual_fma_f32 v26, -v26, v32, v33 :: v_dual_mul_f32 v1, v1, -v6
	s_delay_alu instid0(VALU_DEP_3) | instskip(NEXT) | instid1(VALU_DEP_3)
	v_fmac_f32_e32 v35, v5, v2
	v_dual_fma_f32 v28, -v28, v34, v31 :: v_dual_fmac_f32 v36, v6, v0
	s_delay_alu instid0(VALU_DEP_3) | instskip(SKIP_2) | instid1(VALU_DEP_3)
	v_div_fmas_f32 v26, v26, v29, v32
	s_mov_b32 vcc_lo, s2
	v_fmac_f32_e32 v1, v7, v0
	v_div_fmas_f32 v28, v28, v30, v34
	s_add_nc_u64 s[2:3], s[10:11], s[0:1]
	v_div_fixup_f32 v7, v26, v24, 1.0
	v_fmac_f32_e32 v3, v4, v2
	s_add_nc_u64 s[0:1], s[4:5], s[0:1]
	v_div_fixup_f32 v5, v28, v25, 1.0
	s_delay_alu instid0(VALU_DEP_3) | instskip(NEXT) | instid1(VALU_DEP_2)
	v_dual_mul_f32 v0, v1, v7 :: v_dual_mul_f32 v4, v7, v36
	v_dual_mul_f32 v2, v35, v5 :: v_dual_mul_f32 v26, v5, v3
	s_wait_loadcnt 0x7
	s_delay_alu instid0(VALU_DEP_2)
	v_pk_mul_f32 v[6:7], v[0:1], v[8:9] op_sel:[0,1] op_sel_hi:[0,0] neg_lo:[0,1]
	s_wait_loadcnt 0x5
	v_pk_mul_f32 v[24:25], v[0:1], v[12:13] op_sel:[0,1] op_sel_hi:[0,0] neg_lo:[0,1]
	v_pk_mul_f32 v[0:1], v[0:1], v[10:11] op_sel:[0,1] op_sel_hi:[0,0] neg_hi:[0,1]
	s_wait_loadcnt 0x4
	v_pk_mul_f32 v[28:29], v[2:3], v[14:15] op_sel:[0,1] op_sel_hi:[0,0] neg_lo:[0,1]
	s_wait_loadcnt 0x3
	v_pk_mul_f32 v[30:31], v[2:3], v[16:17] op_sel:[0,1] op_sel_hi:[0,0] neg_lo:[0,1]
	v_pk_fma_f32 v[6:7], v[8:9], v[4:5], v[6:7] op_sel_hi:[1,0,1]
	v_pk_fma_f32 v[8:9], v[12:13], v[4:5], v[24:25] op_sel_hi:[1,0,1]
	s_wait_loadcnt 0x0
	v_pk_mul_f32 v[2:3], v[2:3], v[22:23] op_sel:[0,1] op_sel_hi:[0,0] neg_hi:[0,1]
	v_pk_fma_f32 v[12:13], v[14:15], v[26:27], v[28:29] op_sel_hi:[1,0,1]
	v_pk_fma_f32 v[14:15], v[16:17], v[26:27], v[30:31] op_sel_hi:[1,0,1]
	v_pk_add_f32 v[6:7], v[20:21], v[6:7] neg_lo:[0,1] neg_hi:[0,1]
	v_pk_add_f32 v[8:9], v[18:19], v[8:9] neg_lo:[0,1] neg_hi:[0,1]
	v_pk_fma_f32 v[0:1], v[10:11], v[4:5], v[0:1] op_sel_hi:[1,0,1] neg_lo:[1,0,0] neg_hi:[1,0,0]
	v_pk_fma_f32 v[2:3], v[22:23], v[26:27], v[2:3] op_sel_hi:[1,0,1] neg_lo:[1,0,0] neg_hi:[1,0,0]
	s_delay_alu instid0(VALU_DEP_4) | instskip(NEXT) | instid1(VALU_DEP_4)
	v_pk_add_f32 v[6:7], v[6:7], v[14:15] neg_lo:[0,1] neg_hi:[0,1]
	v_pk_add_f32 v[8:9], v[8:9], v[12:13] neg_lo:[0,1] neg_hi:[0,1]
	s_clause 0x3
	global_store_b64 v27, v[6:7], s[2:3] scale_offset
	global_store_b64 v27, v[8:9], s[6:7] scale_offset
	;; [unrolled: 1-line block ×4, first 2 shown]
	s_endpgm
	.section	.rodata,"a",@progbits
	.p2align	6, 0x0
	.amdhsa_kernel _ZN9rocsparseL49gtsv_nopivot_strided_batch_pcr_pow2_stage1_kernelILj256E21rocsparse_complex_numIfEEEviiiiPKT0_S5_S5_S5_PS3_S6_S6_S6_
		.amdhsa_group_segment_fixed_size 0
		.amdhsa_private_segment_fixed_size 0
		.amdhsa_kernarg_size 80
		.amdhsa_user_sgpr_count 2
		.amdhsa_user_sgpr_dispatch_ptr 0
		.amdhsa_user_sgpr_queue_ptr 0
		.amdhsa_user_sgpr_kernarg_segment_ptr 1
		.amdhsa_user_sgpr_dispatch_id 0
		.amdhsa_user_sgpr_kernarg_preload_length 0
		.amdhsa_user_sgpr_kernarg_preload_offset 0
		.amdhsa_user_sgpr_private_segment_size 0
		.amdhsa_wavefront_size32 1
		.amdhsa_uses_dynamic_stack 0
		.amdhsa_enable_private_segment 0
		.amdhsa_system_sgpr_workgroup_id_x 1
		.amdhsa_system_sgpr_workgroup_id_y 1
		.amdhsa_system_sgpr_workgroup_id_z 0
		.amdhsa_system_sgpr_workgroup_info 0
		.amdhsa_system_vgpr_workitem_id 0
		.amdhsa_next_free_vgpr 37
		.amdhsa_next_free_sgpr 18
		.amdhsa_named_barrier_count 0
		.amdhsa_reserve_vcc 1
		.amdhsa_float_round_mode_32 0
		.amdhsa_float_round_mode_16_64 0
		.amdhsa_float_denorm_mode_32 3
		.amdhsa_float_denorm_mode_16_64 3
		.amdhsa_fp16_overflow 0
		.amdhsa_memory_ordered 1
		.amdhsa_forward_progress 1
		.amdhsa_inst_pref_size 7
		.amdhsa_round_robin_scheduling 0
		.amdhsa_exception_fp_ieee_invalid_op 0
		.amdhsa_exception_fp_denorm_src 0
		.amdhsa_exception_fp_ieee_div_zero 0
		.amdhsa_exception_fp_ieee_overflow 0
		.amdhsa_exception_fp_ieee_underflow 0
		.amdhsa_exception_fp_ieee_inexact 0
		.amdhsa_exception_int_div_zero 0
	.end_amdhsa_kernel
	.section	.text._ZN9rocsparseL49gtsv_nopivot_strided_batch_pcr_pow2_stage1_kernelILj256E21rocsparse_complex_numIfEEEviiiiPKT0_S5_S5_S5_PS3_S6_S6_S6_,"axG",@progbits,_ZN9rocsparseL49gtsv_nopivot_strided_batch_pcr_pow2_stage1_kernelILj256E21rocsparse_complex_numIfEEEviiiiPKT0_S5_S5_S5_PS3_S6_S6_S6_,comdat
.Lfunc_end59:
	.size	_ZN9rocsparseL49gtsv_nopivot_strided_batch_pcr_pow2_stage1_kernelILj256E21rocsparse_complex_numIfEEEviiiiPKT0_S5_S5_S5_PS3_S6_S6_S6_, .Lfunc_end59-_ZN9rocsparseL49gtsv_nopivot_strided_batch_pcr_pow2_stage1_kernelILj256E21rocsparse_complex_numIfEEEviiiiPKT0_S5_S5_S5_PS3_S6_S6_S6_
                                        ; -- End function
	.set _ZN9rocsparseL49gtsv_nopivot_strided_batch_pcr_pow2_stage1_kernelILj256E21rocsparse_complex_numIfEEEviiiiPKT0_S5_S5_S5_PS3_S6_S6_S6_.num_vgpr, 37
	.set _ZN9rocsparseL49gtsv_nopivot_strided_batch_pcr_pow2_stage1_kernelILj256E21rocsparse_complex_numIfEEEviiiiPKT0_S5_S5_S5_PS3_S6_S6_S6_.num_agpr, 0
	.set _ZN9rocsparseL49gtsv_nopivot_strided_batch_pcr_pow2_stage1_kernelILj256E21rocsparse_complex_numIfEEEviiiiPKT0_S5_S5_S5_PS3_S6_S6_S6_.numbered_sgpr, 18
	.set _ZN9rocsparseL49gtsv_nopivot_strided_batch_pcr_pow2_stage1_kernelILj256E21rocsparse_complex_numIfEEEviiiiPKT0_S5_S5_S5_PS3_S6_S6_S6_.num_named_barrier, 0
	.set _ZN9rocsparseL49gtsv_nopivot_strided_batch_pcr_pow2_stage1_kernelILj256E21rocsparse_complex_numIfEEEviiiiPKT0_S5_S5_S5_PS3_S6_S6_S6_.private_seg_size, 0
	.set _ZN9rocsparseL49gtsv_nopivot_strided_batch_pcr_pow2_stage1_kernelILj256E21rocsparse_complex_numIfEEEviiiiPKT0_S5_S5_S5_PS3_S6_S6_S6_.uses_vcc, 1
	.set _ZN9rocsparseL49gtsv_nopivot_strided_batch_pcr_pow2_stage1_kernelILj256E21rocsparse_complex_numIfEEEviiiiPKT0_S5_S5_S5_PS3_S6_S6_S6_.uses_flat_scratch, 0
	.set _ZN9rocsparseL49gtsv_nopivot_strided_batch_pcr_pow2_stage1_kernelILj256E21rocsparse_complex_numIfEEEviiiiPKT0_S5_S5_S5_PS3_S6_S6_S6_.has_dyn_sized_stack, 0
	.set _ZN9rocsparseL49gtsv_nopivot_strided_batch_pcr_pow2_stage1_kernelILj256E21rocsparse_complex_numIfEEEviiiiPKT0_S5_S5_S5_PS3_S6_S6_S6_.has_recursion, 0
	.set _ZN9rocsparseL49gtsv_nopivot_strided_batch_pcr_pow2_stage1_kernelILj256E21rocsparse_complex_numIfEEEviiiiPKT0_S5_S5_S5_PS3_S6_S6_S6_.has_indirect_call, 0
	.section	.AMDGPU.csdata,"",@progbits
; Kernel info:
; codeLenInByte = 868
; TotalNumSgprs: 20
; NumVgprs: 37
; ScratchSize: 0
; MemoryBound: 0
; FloatMode: 240
; IeeeMode: 1
; LDSByteSize: 0 bytes/workgroup (compile time only)
; SGPRBlocks: 0
; VGPRBlocks: 2
; NumSGPRsForWavesPerEU: 20
; NumVGPRsForWavesPerEU: 37
; NamedBarCnt: 0
; Occupancy: 16
; WaveLimiterHint : 0
; COMPUTE_PGM_RSRC2:SCRATCH_EN: 0
; COMPUTE_PGM_RSRC2:USER_SGPR: 2
; COMPUTE_PGM_RSRC2:TRAP_HANDLER: 0
; COMPUTE_PGM_RSRC2:TGID_X_EN: 1
; COMPUTE_PGM_RSRC2:TGID_Y_EN: 1
; COMPUTE_PGM_RSRC2:TGID_Z_EN: 0
; COMPUTE_PGM_RSRC2:TIDIG_COMP_CNT: 0
	.section	.text._ZN9rocsparseL48gtsv_nopivot_strided_batch_cr_pow2_stage2_kernelILj256E21rocsparse_complex_numIfEEEviiiPKT0_S5_S5_S5_PS3_,"axG",@progbits,_ZN9rocsparseL48gtsv_nopivot_strided_batch_cr_pow2_stage2_kernelILj256E21rocsparse_complex_numIfEEEviiiPKT0_S5_S5_S5_PS3_,comdat
	.globl	_ZN9rocsparseL48gtsv_nopivot_strided_batch_cr_pow2_stage2_kernelILj256E21rocsparse_complex_numIfEEEviiiPKT0_S5_S5_S5_PS3_ ; -- Begin function _ZN9rocsparseL48gtsv_nopivot_strided_batch_cr_pow2_stage2_kernelILj256E21rocsparse_complex_numIfEEEviiiPKT0_S5_S5_S5_PS3_
	.p2align	8
	.type	_ZN9rocsparseL48gtsv_nopivot_strided_batch_cr_pow2_stage2_kernelILj256E21rocsparse_complex_numIfEEEviiiPKT0_S5_S5_S5_PS3_,@function
_ZN9rocsparseL48gtsv_nopivot_strided_batch_cr_pow2_stage2_kernelILj256E21rocsparse_complex_numIfEEEviiiPKT0_S5_S5_S5_PS3_: ; @_ZN9rocsparseL48gtsv_nopivot_strided_batch_cr_pow2_stage2_kernelILj256E21rocsparse_complex_numIfEEEviiiPKT0_S5_S5_S5_PS3_
; %bb.0:
	s_load_b32 s2, s[0:1], 0x38
	s_bfe_u32 s4, ttmp6, 0x4000c
	s_bfe_u32 s5, ttmp6, 0x40010
	s_load_b32 s8, s[0:1], 0x0
	s_add_co_i32 s4, s4, 1
	s_add_co_i32 s5, s5, 1
	s_and_b32 s3, ttmp6, 15
	s_bfe_u32 s6, ttmp6, 0x40004
	s_mul_i32 s4, ttmp9, s4
	s_mul_i32 s5, ttmp7, s5
	s_getreg_b32 s7, hwreg(HW_REG_IB_STS2, 6, 4)
	s_add_co_i32 s3, s3, s4
	s_add_co_i32 s6, s6, s5
	s_cmp_eq_u32 s7, 0
	s_load_b256 s[12:19], s[0:1], 0x10
	s_cselect_b32 s3, ttmp9, s3
	s_cselect_b32 s11, ttmp7, s6
	v_mov_b64_e32 v[22:23], 0
	s_wait_kmcnt 0x0
	v_mad_u32 v4, s2, v0, s3
	s_mul_i32 s8, s8, s11
	s_delay_alu instid0(VALU_DEP_1) | instskip(SKIP_2) | instid1(VALU_DEP_3)
	v_lshl_add_u32 v5, s2, 8, v4
	v_add_nc_u32_e32 v1, s8, v4
	v_cmp_gt_u32_e64 s2, 0x100, v0
	v_add_nc_u32_e32 v2, s8, v5
	s_clause 0x3
	global_load_b64 v[6:7], v1, s[12:13] scale_offset
	global_load_b64 v[8:9], v1, s[14:15] scale_offset
	;; [unrolled: 1-line block ×4, first 2 shown]
	s_clause 0x3
	global_load_b64 v[14:15], v2, s[12:13] scale_offset
	global_load_b64 v[16:17], v2, s[14:15] scale_offset
	;; [unrolled: 1-line block ×4, first 2 shown]
	s_wait_xcnt 0x0
	v_dual_lshlrev_b32 v1, 3, v0 :: v_dual_add_nc_u32 v2, 1, v0
	ds_store_2addr_stride64_b64 v1, v[22:23], v[22:23] offset0:24 offset1:28
	s_wait_loadcnt 0x3
	ds_store_2addr_stride64_b64 v1, v[6:7], v[14:15] offset1:4
	s_wait_loadcnt 0x2
	ds_store_2addr_stride64_b64 v1, v[8:9], v[16:17] offset0:8 offset1:12
	s_wait_loadcnt 0x1
	ds_store_2addr_stride64_b64 v1, v[10:11], v[18:19] offset0:16 offset1:20
	;; [unrolled: 2-line block ×3, first 2 shown]
	s_wait_dscnt 0x0
	s_barrier_signal -1
	s_barrier_wait -1
	s_and_saveexec_b32 s4, s2
	s_cbranch_execz .LBB60_2
; %bb.1:
	v_dual_lshlrev_b32 v3, 1, v2 :: v_dual_lshlrev_b32 v31, 4, v2
	s_delay_alu instid0(VALU_DEP_1)
	v_min_u32_e32 v3, 0x1ff, v3
	ds_load_b128 v[6:9], v31 offset:4080
	v_add_nc_u32_e32 v19, 0x1800, v31
	v_add_nc_u32_e32 v37, -8, v31
	s_wait_dscnt 0x0
	v_mul_f32_e32 v30, v7, v7
	s_delay_alu instid0(VALU_DEP_1)
	v_dual_fmac_f32 v30, v6, v6 :: v_dual_lshlrev_b32 v3, 3, v3
	ds_load_2addr_stride64_b64 v[10:13], v3 offset1:8
	ds_load_b128 v[14:17], v31 offset:16368
	ds_load_b64 v[26:27], v37
	v_div_scale_f32 v33, null, v30, v30, 1.0
	v_div_scale_f32 v38, vcc_lo, 1.0, v30, 1.0
	s_delay_alu instid0(VALU_DEP_2) | instskip(SKIP_1) | instid1(TRANS32_DEP_1)
	v_rcp_f32_e32 v34, v33
	v_nop
	v_fma_f32 v18, -v33, v34, 1.0
	s_wait_dscnt 0x2
	s_delay_alu instid0(VALU_DEP_1) | instskip(NEXT) | instid1(VALU_DEP_1)
	v_dual_mul_f32 v32, v13, v13 :: v_dual_fmac_f32 v34, v18, v34
	v_fmac_f32_e32 v32, v12, v12
	s_delay_alu instid0(VALU_DEP_1) | instskip(SKIP_1) | instid1(VALU_DEP_2)
	v_div_scale_f32 v35, null, v32, v32, 1.0
	v_div_scale_f32 v40, s3, 1.0, v32, 1.0
	v_rcp_f32_e32 v36, v35
	v_nop
	s_delay_alu instid0(TRANS32_DEP_1) | instskip(NEXT) | instid1(VALU_DEP_1)
	v_fma_f32 v18, -v35, v36, 1.0
	v_fmac_f32_e32 v36, v18, v36
	v_mul_f32_e32 v39, v38, v34
	ds_load_2addr_b64 v[18:21], v19 offset0:254 offset1:255
	v_dual_mul_f32 v41, v40, v36 :: v_dual_fma_f32 v22, -v33, v39, v38
	s_delay_alu instid0(VALU_DEP_1) | instskip(NEXT) | instid1(VALU_DEP_2)
	v_dual_add_nc_u32 v23, -16, v31 :: v_dual_fmac_f32 v39, v22, v34
	v_fma_f32 v42, -v35, v41, v40
	ds_load_b64 v[28:29], v23
	ds_load_2addr_stride64_b64 v[22:25], v3 offset0:16 offset1:32
	s_wait_dscnt 0x3
	v_dual_fma_f32 v3, -v33, v39, v38 :: v_dual_mul_f32 v33, v7, -v26
	v_dual_fmac_f32 v41, v42, v36 :: v_dual_mul_f32 v7, v7, v27
	s_delay_alu instid0(VALU_DEP_2) | instskip(SKIP_1) | instid1(VALU_DEP_3)
	v_div_fmas_f32 v3, v3, v34, v39
	s_wait_dscnt 0x2
	v_dual_fmac_f32 v33, v27, v6 :: v_dual_mul_f32 v34, v13, -v20
	s_delay_alu instid0(VALU_DEP_3) | instskip(SKIP_3) | instid1(VALU_DEP_3)
	v_dual_fma_f32 v27, -v35, v41, v40 :: v_dual_fmac_f32 v7, v26, v6
	s_mov_b32 vcc_lo, s3
	v_div_fixup_f32 v3, v3, v30, 1.0
	v_mul_f32_e32 v13, v13, v21
	v_div_fmas_f32 v27, v27, v36, v41
	v_fmac_f32_e32 v34, v21, v12
	s_delay_alu instid0(VALU_DEP_3) | instskip(NEXT) | instid1(VALU_DEP_3)
	v_dual_mul_f32 v6, v33, v3 :: v_dual_fmac_f32 v13, v20, v12
	v_div_fixup_f32 v32, v27, v32, 1.0
	v_mul_f32_e32 v12, v3, v7
	v_add_nc_u32_e32 v3, 0x1f8, v31
	s_delay_alu instid0(VALU_DEP_4)
	v_pk_mul_f32 v[20:21], v[6:7], v[18:19] op_sel:[0,1] op_sel_hi:[0,0] neg_lo:[0,1]
	v_pk_mul_f32 v[26:27], v[6:7], v[14:15] op_sel:[0,1] op_sel_hi:[0,0] neg_lo:[0,1]
	v_dual_mul_f32 v30, v34, v32 :: v_dual_mul_f32 v32, v32, v13
	s_wait_dscnt 0x1
	v_pk_mul_f32 v[6:7], v[6:7], v[28:29] op_sel:[0,1] op_sel_hi:[0,0] neg_hi:[0,1]
	v_pk_fma_f32 v[18:19], v[18:19], v[12:13], v[20:21] op_sel_hi:[1,0,1]
	v_pk_fma_f32 v[14:15], v[14:15], v[12:13], v[26:27] op_sel_hi:[1,0,1]
	s_wait_dscnt 0x0
	v_pk_mul_f32 v[20:21], v[30:31], v[24:25] op_sel:[0,1] op_sel_hi:[0,0] neg_lo:[0,1]
	v_pk_mul_f32 v[26:27], v[30:31], v[10:11] op_sel:[0,1] op_sel_hi:[0,0] neg_lo:[0,1]
	v_pk_fma_f32 v[6:7], v[28:29], v[12:13], v[6:7] op_sel_hi:[1,0,1] neg_lo:[1,0,0] neg_hi:[1,0,0]
	v_pk_add_f32 v[8:9], v[8:9], v[18:19] neg_lo:[0,1] neg_hi:[0,1]
	v_pk_add_f32 v[14:15], v[16:17], v[14:15] neg_lo:[0,1] neg_hi:[0,1]
	v_pk_fma_f32 v[16:17], v[24:25], v[32:33], v[20:21] op_sel_hi:[1,0,1]
	v_pk_mul_f32 v[18:19], v[30:31], v[22:23] op_sel:[0,1] op_sel_hi:[0,0] neg_hi:[0,1]
	v_pk_fma_f32 v[10:11], v[10:11], v[32:33], v[26:27] op_sel_hi:[1,0,1]
	s_delay_alu instid0(VALU_DEP_3) | instskip(NEXT) | instid1(VALU_DEP_3)
	v_pk_add_f32 v[12:13], v[14:15], v[16:17] neg_lo:[0,1] neg_hi:[0,1]
	v_pk_fma_f32 v[14:15], v[22:23], v[32:33], v[18:19] op_sel_hi:[1,0,1] neg_lo:[1,0,0] neg_hi:[1,0,0]
	s_delay_alu instid0(VALU_DEP_3)
	v_pk_add_f32 v[8:9], v[8:9], v[10:11] neg_lo:[0,1] neg_hi:[0,1]
	ds_store_b64 v31, v[12:13] offset:16376
	ds_store_b64 v37, v[6:7]
	ds_store_2addr_stride64_b64 v3, v[8:9], v[14:15] offset0:7 offset1:15
.LBB60_2:
	s_or_b32 exec_lo, exec_lo, s4
	v_cmp_gt_u32_e64 s3, 0x80, v0
	s_wait_dscnt 0x0
	s_barrier_signal -1
	s_barrier_wait -1
	s_and_saveexec_b32 s5, s3
	s_cbranch_execz .LBB60_4
; %bb.3:
	v_lshlrev_b32_e32 v3, 5, v2
	v_lshl_or_b32 v6, v2, 2, 1
	s_delay_alu instid0(VALU_DEP_2) | instskip(NEXT) | instid1(VALU_DEP_2)
	v_add_nc_u32_e32 v7, 0x800, v3
	v_min_u32_e32 v10, 0x1ff, v6
	ds_load_2addr_b64 v[6:9], v7 offset0:253 offset1:255
	v_lshlrev_b32_e32 v22, 3, v10
	ds_load_2addr_stride64_b64 v[10:13], v22 offset1:8
	s_wait_dscnt 0x1
	v_mul_f32_e32 v30, v7, v7
	v_subrev_nc_u32_e32 v23, 24, v3
	s_delay_alu instid0(VALU_DEP_2)
	v_dual_add_nc_u32 v36, -8, v3 :: v_dual_fmac_f32 v30, v6, v6
	s_wait_dscnt 0x0
	v_mul_f32_e32 v31, v13, v13
	ds_load_b64 v[26:27], v36
	v_div_scale_f32 v32, null, v30, v30, 1.0
	v_fmac_f32_e32 v31, v12, v12
	v_div_scale_f32 v37, vcc_lo, 1.0, v30, 1.0
	s_delay_alu instid0(VALU_DEP_3) | instskip(NEXT) | instid1(VALU_DEP_2)
	v_rcp_f32_e32 v33, v32
	v_div_scale_f32 v34, null, v31, v31, 1.0
	v_div_scale_f32 v39, s4, 1.0, v31, 1.0
	s_delay_alu instid0(VALU_DEP_2) | instskip(NEXT) | instid1(TRANS32_DEP_2)
	v_rcp_f32_e32 v35, v34
	v_fma_f32 v14, -v32, v33, 1.0
	s_delay_alu instid0(VALU_DEP_1) | instskip(NEXT) | instid1(TRANS32_DEP_1)
	v_fmac_f32_e32 v33, v14, v33
	v_fma_f32 v14, -v34, v35, 1.0
	s_delay_alu instid0(VALU_DEP_1) | instskip(NEXT) | instid1(VALU_DEP_3)
	v_fmac_f32_e32 v35, v14, v35
	v_dual_mul_f32 v38, v37, v33 :: v_dual_add_nc_u32 v15, 0x1800, v3
	s_delay_alu instid0(VALU_DEP_2) | instskip(SKIP_2) | instid1(VALU_DEP_1)
	v_mul_f32_e32 v40, v39, v35
	ds_load_2addr_b64 v[14:17], v15 offset0:253 offset1:255
	v_fma_f32 v18, -v32, v38, v37
	v_dual_fmac_f32 v38, v18, v33 :: v_dual_add_nc_u32 v19, 0x3800, v3
	v_fma_f32 v41, -v34, v40, v39
	ds_load_2addr_b64 v[18:21], v19 offset0:253 offset1:255
	ds_load_b64 v[28:29], v23
	ds_load_2addr_stride64_b64 v[22:25], v22 offset0:16 offset1:32
	v_fma_f32 v32, -v32, v38, v37
	s_wait_dscnt 0x4
	v_dual_mul_f32 v37, v7, -v26 :: v_dual_fmac_f32 v40, v41, v35
	v_mul_f32_e32 v7, v7, v27
	s_delay_alu instid0(VALU_DEP_3) | instskip(NEXT) | instid1(VALU_DEP_3)
	v_div_fmas_f32 v32, v32, v33, v38
	v_dual_fmac_f32 v37, v27, v6 :: v_dual_fma_f32 v27, -v34, v40, v39
	s_mov_b32 vcc_lo, s4
	s_wait_dscnt 0x3
	v_mul_f32_e64 v33, v13, -v16
	v_div_fixup_f32 v30, v32, v30, 1.0
	v_dual_fmac_f32 v7, v26, v6 :: v_dual_mul_f32 v13, v13, v17
	v_div_fmas_f32 v27, v27, v35, v40
	s_delay_alu instid0(VALU_DEP_4) | instskip(NEXT) | instid1(VALU_DEP_3)
	v_fmac_f32_e32 v33, v17, v12
	v_dual_mul_f32 v6, v37, v30 :: v_dual_fmac_f32 v13, v16, v12
	s_delay_alu instid0(VALU_DEP_3) | instskip(SKIP_2) | instid1(VALU_DEP_3)
	v_div_fixup_f32 v27, v27, v31, 1.0
	v_mul_f32_e32 v12, v30, v7
	s_wait_dscnt 0x2
	v_pk_mul_f32 v[16:17], v[6:7], v[18:19] op_sel:[0,1] op_sel_hi:[0,0] neg_lo:[0,1]
	v_pk_mul_f32 v[30:31], v[6:7], v[14:15] op_sel:[0,1] op_sel_hi:[0,0] neg_lo:[0,1]
	s_wait_dscnt 0x1
	v_pk_mul_f32 v[6:7], v[6:7], v[28:29] op_sel:[0,1] op_sel_hi:[0,0] neg_hi:[0,1]
	v_dual_mul_f32 v26, v33, v27 :: v_dual_mul_f32 v32, v27, v13
	v_pk_fma_f32 v[16:17], v[18:19], v[12:13], v[16:17] op_sel_hi:[1,0,1]
	v_pk_fma_f32 v[14:15], v[14:15], v[12:13], v[30:31] op_sel_hi:[1,0,1]
	s_delay_alu instid0(VALU_DEP_4)
	v_pk_fma_f32 v[6:7], v[28:29], v[12:13], v[6:7] op_sel_hi:[1,0,1] neg_lo:[1,0,0] neg_hi:[1,0,0]
	s_wait_dscnt 0x0
	v_pk_mul_f32 v[18:19], v[26:27], v[24:25] op_sel:[0,1] op_sel_hi:[0,0] neg_lo:[0,1]
	v_pk_mul_f32 v[30:31], v[26:27], v[10:11] op_sel:[0,1] op_sel_hi:[0,0] neg_lo:[0,1]
	v_pk_add_f32 v[16:17], v[20:21], v[16:17] neg_lo:[0,1] neg_hi:[0,1]
	v_pk_mul_f32 v[26:27], v[26:27], v[22:23] op_sel:[0,1] op_sel_hi:[0,0] neg_hi:[0,1]
	v_pk_add_f32 v[8:9], v[8:9], v[14:15] neg_lo:[0,1] neg_hi:[0,1]
	v_pk_fma_f32 v[18:19], v[24:25], v[32:33], v[18:19] op_sel_hi:[1,0,1]
	v_pk_fma_f32 v[10:11], v[10:11], v[32:33], v[30:31] op_sel_hi:[1,0,1]
	v_add_nc_u32_e32 v20, 0x1f8, v3
	v_pk_fma_f32 v[14:15], v[22:23], v[32:33], v[26:27] op_sel_hi:[1,0,1] neg_lo:[1,0,0] neg_hi:[1,0,0]
	s_delay_alu instid0(VALU_DEP_4) | instskip(NEXT) | instid1(VALU_DEP_4)
	v_pk_add_f32 v[12:13], v[16:17], v[18:19] neg_lo:[0,1] neg_hi:[0,1]
	v_pk_add_f32 v[8:9], v[8:9], v[10:11] neg_lo:[0,1] neg_hi:[0,1]
	ds_store_b64 v3, v[12:13] offset:16376
	ds_store_b64 v36, v[6:7]
	ds_store_2addr_stride64_b64 v20, v[8:9], v[14:15] offset0:7 offset1:15
.LBB60_4:
	s_or_b32 exec_lo, exec_lo, s5
	v_cmp_gt_u32_e64 s4, 64, v0
	s_wait_dscnt 0x0
	s_barrier_signal -1
	s_barrier_wait -1
	s_and_saveexec_b32 s6, s4
	s_cbranch_execz .LBB60_6
; %bb.5:
	v_lshlrev_b32_e32 v3, 6, v2
	v_lshl_or_b32 v6, v2, 3, 3
	s_delay_alu instid0(VALU_DEP_2) | instskip(NEXT) | instid1(VALU_DEP_2)
	v_add_nc_u32_e32 v7, 0x800, v3
	v_min_u32_e32 v10, 0x1ff, v6
	ds_load_2addr_b64 v[6:9], v7 offset0:251 offset1:255
	v_lshlrev_b32_e32 v22, 3, v10
	ds_load_2addr_stride64_b64 v[10:13], v22 offset1:8
	s_wait_dscnt 0x1
	v_mul_f32_e32 v30, v7, v7
	v_subrev_nc_u32_e32 v23, 40, v3
	s_delay_alu instid0(VALU_DEP_2)
	v_dual_add_nc_u32 v36, -8, v3 :: v_dual_fmac_f32 v30, v6, v6
	s_wait_dscnt 0x0
	v_mul_f32_e32 v31, v13, v13
	ds_load_b64 v[26:27], v36
	v_div_scale_f32 v32, null, v30, v30, 1.0
	v_fmac_f32_e32 v31, v12, v12
	v_div_scale_f32 v37, vcc_lo, 1.0, v30, 1.0
	s_delay_alu instid0(VALU_DEP_3) | instskip(NEXT) | instid1(VALU_DEP_2)
	v_rcp_f32_e32 v33, v32
	v_div_scale_f32 v34, null, v31, v31, 1.0
	v_div_scale_f32 v39, s5, 1.0, v31, 1.0
	s_delay_alu instid0(VALU_DEP_2) | instskip(NEXT) | instid1(TRANS32_DEP_2)
	v_rcp_f32_e32 v35, v34
	v_fma_f32 v14, -v32, v33, 1.0
	s_delay_alu instid0(VALU_DEP_1) | instskip(NEXT) | instid1(TRANS32_DEP_1)
	v_fmac_f32_e32 v33, v14, v33
	v_fma_f32 v14, -v34, v35, 1.0
	s_delay_alu instid0(VALU_DEP_1) | instskip(NEXT) | instid1(VALU_DEP_3)
	v_fmac_f32_e32 v35, v14, v35
	v_dual_mul_f32 v38, v37, v33 :: v_dual_add_nc_u32 v15, 0x1800, v3
	s_delay_alu instid0(VALU_DEP_2) | instskip(SKIP_2) | instid1(VALU_DEP_1)
	v_mul_f32_e32 v40, v39, v35
	ds_load_2addr_b64 v[14:17], v15 offset0:251 offset1:255
	v_fma_f32 v18, -v32, v38, v37
	v_dual_fmac_f32 v38, v18, v33 :: v_dual_add_nc_u32 v19, 0x3800, v3
	v_fma_f32 v41, -v34, v40, v39
	ds_load_2addr_b64 v[18:21], v19 offset0:251 offset1:255
	ds_load_b64 v[28:29], v23
	ds_load_2addr_stride64_b64 v[22:25], v22 offset0:16 offset1:32
	v_fma_f32 v32, -v32, v38, v37
	s_wait_dscnt 0x4
	v_dual_mul_f32 v37, v7, -v26 :: v_dual_fmac_f32 v40, v41, v35
	v_mul_f32_e32 v7, v7, v27
	s_delay_alu instid0(VALU_DEP_3) | instskip(NEXT) | instid1(VALU_DEP_3)
	v_div_fmas_f32 v32, v32, v33, v38
	v_dual_fmac_f32 v37, v27, v6 :: v_dual_fma_f32 v27, -v34, v40, v39
	s_mov_b32 vcc_lo, s5
	s_wait_dscnt 0x3
	v_mul_f32_e64 v33, v13, -v16
	v_div_fixup_f32 v30, v32, v30, 1.0
	v_dual_fmac_f32 v7, v26, v6 :: v_dual_mul_f32 v13, v13, v17
	v_div_fmas_f32 v27, v27, v35, v40
	s_delay_alu instid0(VALU_DEP_4) | instskip(NEXT) | instid1(VALU_DEP_3)
	v_fmac_f32_e32 v33, v17, v12
	v_dual_mul_f32 v6, v37, v30 :: v_dual_fmac_f32 v13, v16, v12
	s_delay_alu instid0(VALU_DEP_3) | instskip(SKIP_2) | instid1(VALU_DEP_3)
	v_div_fixup_f32 v27, v27, v31, 1.0
	v_mul_f32_e32 v12, v30, v7
	s_wait_dscnt 0x2
	v_pk_mul_f32 v[16:17], v[6:7], v[18:19] op_sel:[0,1] op_sel_hi:[0,0] neg_lo:[0,1]
	v_pk_mul_f32 v[30:31], v[6:7], v[14:15] op_sel:[0,1] op_sel_hi:[0,0] neg_lo:[0,1]
	s_wait_dscnt 0x1
	v_pk_mul_f32 v[6:7], v[6:7], v[28:29] op_sel:[0,1] op_sel_hi:[0,0] neg_hi:[0,1]
	v_dual_mul_f32 v26, v33, v27 :: v_dual_mul_f32 v32, v27, v13
	v_pk_fma_f32 v[16:17], v[18:19], v[12:13], v[16:17] op_sel_hi:[1,0,1]
	v_pk_fma_f32 v[14:15], v[14:15], v[12:13], v[30:31] op_sel_hi:[1,0,1]
	s_delay_alu instid0(VALU_DEP_4)
	v_pk_fma_f32 v[6:7], v[28:29], v[12:13], v[6:7] op_sel_hi:[1,0,1] neg_lo:[1,0,0] neg_hi:[1,0,0]
	s_wait_dscnt 0x0
	v_pk_mul_f32 v[18:19], v[26:27], v[24:25] op_sel:[0,1] op_sel_hi:[0,0] neg_lo:[0,1]
	v_pk_mul_f32 v[30:31], v[26:27], v[10:11] op_sel:[0,1] op_sel_hi:[0,0] neg_lo:[0,1]
	v_pk_add_f32 v[16:17], v[20:21], v[16:17] neg_lo:[0,1] neg_hi:[0,1]
	v_pk_mul_f32 v[26:27], v[26:27], v[22:23] op_sel:[0,1] op_sel_hi:[0,0] neg_hi:[0,1]
	v_pk_add_f32 v[8:9], v[8:9], v[14:15] neg_lo:[0,1] neg_hi:[0,1]
	v_pk_fma_f32 v[18:19], v[24:25], v[32:33], v[18:19] op_sel_hi:[1,0,1]
	v_pk_fma_f32 v[10:11], v[10:11], v[32:33], v[30:31] op_sel_hi:[1,0,1]
	v_add_nc_u32_e32 v20, 0x1f8, v3
	v_pk_fma_f32 v[14:15], v[22:23], v[32:33], v[26:27] op_sel_hi:[1,0,1] neg_lo:[1,0,0] neg_hi:[1,0,0]
	s_delay_alu instid0(VALU_DEP_4) | instskip(NEXT) | instid1(VALU_DEP_4)
	v_pk_add_f32 v[12:13], v[16:17], v[18:19] neg_lo:[0,1] neg_hi:[0,1]
	v_pk_add_f32 v[8:9], v[8:9], v[10:11] neg_lo:[0,1] neg_hi:[0,1]
	ds_store_b64 v3, v[12:13] offset:16376
	ds_store_b64 v36, v[6:7]
	ds_store_2addr_stride64_b64 v20, v[8:9], v[14:15] offset0:7 offset1:15
.LBB60_6:
	s_or_b32 exec_lo, exec_lo, s6
	v_cmp_gt_u32_e64 s5, 32, v0
	s_wait_dscnt 0x0
	s_barrier_signal -1
	s_barrier_wait -1
	s_and_saveexec_b32 s7, s5
	s_cbranch_execz .LBB60_8
; %bb.7:
	v_lshlrev_b32_e32 v3, 7, v2
	v_lshl_or_b32 v6, v2, 4, 7
	s_delay_alu instid0(VALU_DEP_2) | instskip(NEXT) | instid1(VALU_DEP_2)
	v_add_nc_u32_e32 v7, 0x800, v3
	v_min_u32_e32 v10, 0x1ff, v6
	ds_load_2addr_b64 v[6:9], v7 offset0:247 offset1:255
	v_lshlrev_b32_e32 v22, 3, v10
	ds_load_2addr_stride64_b64 v[10:13], v22 offset1:8
	s_wait_dscnt 0x1
	v_mul_f32_e32 v30, v7, v7
	s_delay_alu instid0(VALU_DEP_1)
	v_dual_add_nc_u32 v36, -8, v3 :: v_dual_fmac_f32 v30, v6, v6
	s_wait_dscnt 0x0
	v_mul_f32_e32 v31, v13, v13
	ds_load_b64 v[26:27], v36
	v_div_scale_f32 v32, null, v30, v30, 1.0
	v_fmac_f32_e32 v31, v12, v12
	v_div_scale_f32 v37, vcc_lo, 1.0, v30, 1.0
	s_delay_alu instid0(VALU_DEP_3) | instskip(NEXT) | instid1(VALU_DEP_2)
	v_rcp_f32_e32 v33, v32
	v_div_scale_f32 v34, null, v31, v31, 1.0
	v_div_scale_f32 v39, s6, 1.0, v31, 1.0
	s_delay_alu instid0(VALU_DEP_2) | instskip(NEXT) | instid1(TRANS32_DEP_2)
	v_rcp_f32_e32 v35, v34
	v_fma_f32 v14, -v32, v33, 1.0
	s_delay_alu instid0(VALU_DEP_1) | instskip(NEXT) | instid1(TRANS32_DEP_1)
	v_fmac_f32_e32 v33, v14, v33
	v_fma_f32 v14, -v34, v35, 1.0
	s_delay_alu instid0(VALU_DEP_1) | instskip(NEXT) | instid1(VALU_DEP_3)
	v_fmac_f32_e32 v35, v14, v35
	v_dual_mul_f32 v38, v37, v33 :: v_dual_add_nc_u32 v15, 0x1800, v3
	s_delay_alu instid0(VALU_DEP_2) | instskip(SKIP_2) | instid1(VALU_DEP_1)
	v_mul_f32_e32 v40, v39, v35
	ds_load_2addr_b64 v[14:17], v15 offset0:247 offset1:255
	v_fma_f32 v18, -v32, v38, v37
	v_dual_fmac_f32 v38, v18, v33 :: v_dual_add_nc_u32 v19, 0x3800, v3
	v_fma_f32 v41, -v34, v40, v39
	ds_load_2addr_b64 v[18:21], v19 offset0:247 offset1:255
	v_fma_f32 v32, -v32, v38, v37
	s_wait_dscnt 0x2
	v_dual_mul_f32 v37, v7, -v26 :: v_dual_fmac_f32 v40, v41, v35
	v_mul_f32_e32 v7, v7, v27
	s_delay_alu instid0(VALU_DEP_3) | instskip(NEXT) | instid1(VALU_DEP_3)
	v_div_fmas_f32 v32, v32, v33, v38
	v_dual_fmac_f32 v37, v27, v6 :: v_dual_fma_f32 v27, -v34, v40, v39
	s_wait_dscnt 0x1
	s_delay_alu instid0(VALU_DEP_3) | instskip(NEXT) | instid1(VALU_DEP_3)
	v_dual_fmac_f32 v7, v26, v6 :: v_dual_mul_f32 v33, v13, -v16
	v_div_fixup_f32 v30, v32, v30, 1.0
	v_add_nc_u32_e32 v23, 0xffffffb8, v3
	s_mov_b32 vcc_lo, s6
	v_mul_f32_e32 v13, v13, v17
	v_div_fmas_f32 v27, v27, v35, v40
	v_mul_f32_e32 v6, v37, v30
	ds_load_b64 v[28:29], v23
	ds_load_2addr_stride64_b64 v[22:25], v22 offset0:16 offset1:32
	v_fmac_f32_e32 v33, v17, v12
	v_div_fixup_f32 v27, v27, v31, 1.0
	v_dual_fmac_f32 v13, v16, v12 :: v_dual_mul_f32 v12, v30, v7
	s_wait_dscnt 0x2
	v_pk_mul_f32 v[16:17], v[6:7], v[18:19] op_sel:[0,1] op_sel_hi:[0,0] neg_lo:[0,1]
	v_pk_mul_f32 v[30:31], v[6:7], v[14:15] op_sel:[0,1] op_sel_hi:[0,0] neg_lo:[0,1]
	s_delay_alu instid0(VALU_DEP_3) | instskip(NEXT) | instid1(VALU_DEP_3)
	v_dual_mul_f32 v26, v33, v27 :: v_dual_mul_f32 v32, v27, v13
	v_pk_fma_f32 v[16:17], v[18:19], v[12:13], v[16:17] op_sel_hi:[1,0,1]
	s_delay_alu instid0(VALU_DEP_3) | instskip(NEXT) | instid1(VALU_DEP_3)
	v_pk_fma_f32 v[14:15], v[14:15], v[12:13], v[30:31] op_sel_hi:[1,0,1]
	v_pk_mul_f32 v[30:31], v[26:27], v[10:11] op_sel:[0,1] op_sel_hi:[0,0] neg_lo:[0,1]
	s_delay_alu instid0(VALU_DEP_3) | instskip(NEXT) | instid1(VALU_DEP_3)
	v_pk_add_f32 v[16:17], v[20:21], v[16:17] neg_lo:[0,1] neg_hi:[0,1]
	v_pk_add_f32 v[8:9], v[8:9], v[14:15] neg_lo:[0,1] neg_hi:[0,1]
	s_delay_alu instid0(VALU_DEP_3)
	v_pk_fma_f32 v[10:11], v[10:11], v[32:33], v[30:31] op_sel_hi:[1,0,1]
	s_wait_dscnt 0x1
	v_pk_mul_f32 v[6:7], v[6:7], v[28:29] op_sel:[0,1] op_sel_hi:[0,0] neg_hi:[0,1]
	s_wait_dscnt 0x0
	v_pk_mul_f32 v[18:19], v[26:27], v[24:25] op_sel:[0,1] op_sel_hi:[0,0] neg_lo:[0,1]
	v_pk_mul_f32 v[26:27], v[26:27], v[22:23] op_sel:[0,1] op_sel_hi:[0,0] neg_hi:[0,1]
	v_add_nc_u32_e32 v20, 0x1f8, v3
	v_pk_add_f32 v[8:9], v[8:9], v[10:11] neg_lo:[0,1] neg_hi:[0,1]
	v_pk_fma_f32 v[6:7], v[28:29], v[12:13], v[6:7] op_sel_hi:[1,0,1] neg_lo:[1,0,0] neg_hi:[1,0,0]
	v_pk_fma_f32 v[18:19], v[24:25], v[32:33], v[18:19] op_sel_hi:[1,0,1]
	v_pk_fma_f32 v[14:15], v[22:23], v[32:33], v[26:27] op_sel_hi:[1,0,1] neg_lo:[1,0,0] neg_hi:[1,0,0]
	s_delay_alu instid0(VALU_DEP_2)
	v_pk_add_f32 v[12:13], v[16:17], v[18:19] neg_lo:[0,1] neg_hi:[0,1]
	ds_store_b64 v3, v[12:13] offset:16376
	ds_store_b64 v36, v[6:7]
	ds_store_2addr_stride64_b64 v20, v[8:9], v[14:15] offset0:7 offset1:15
.LBB60_8:
	s_or_b32 exec_lo, exec_lo, s7
	v_cmp_gt_u32_e64 s6, 16, v0
	s_wait_dscnt 0x0
	s_barrier_signal -1
	s_barrier_wait -1
	s_and_saveexec_b32 s8, s6
	s_cbranch_execz .LBB60_10
; %bb.9:
	v_lshlrev_b32_e32 v3, 8, v2
	v_lshl_or_b32 v6, v2, 5, 15
	s_delay_alu instid0(VALU_DEP_2) | instskip(NEXT) | instid1(VALU_DEP_2)
	v_add_nc_u32_e32 v7, 0x800, v3
	v_min_u32_e32 v10, 0x1ff, v6
	ds_load_2addr_b64 v[6:9], v7 offset0:239 offset1:255
	v_lshlrev_b32_e32 v22, 3, v10
	ds_load_2addr_stride64_b64 v[10:13], v22 offset1:8
	s_wait_dscnt 0x1
	v_mul_f32_e32 v30, v7, v7
	s_delay_alu instid0(VALU_DEP_1)
	v_dual_add_nc_u32 v36, -8, v3 :: v_dual_fmac_f32 v30, v6, v6
	s_wait_dscnt 0x0
	v_mul_f32_e32 v31, v13, v13
	ds_load_b64 v[26:27], v36
	v_div_scale_f32 v32, null, v30, v30, 1.0
	v_fmac_f32_e32 v31, v12, v12
	v_div_scale_f32 v37, vcc_lo, 1.0, v30, 1.0
	s_delay_alu instid0(VALU_DEP_3) | instskip(NEXT) | instid1(VALU_DEP_2)
	v_rcp_f32_e32 v33, v32
	v_div_scale_f32 v34, null, v31, v31, 1.0
	v_div_scale_f32 v39, s7, 1.0, v31, 1.0
	s_delay_alu instid0(VALU_DEP_2) | instskip(NEXT) | instid1(TRANS32_DEP_2)
	v_rcp_f32_e32 v35, v34
	v_fma_f32 v14, -v32, v33, 1.0
	s_delay_alu instid0(VALU_DEP_1) | instskip(NEXT) | instid1(TRANS32_DEP_1)
	v_fmac_f32_e32 v33, v14, v33
	v_fma_f32 v14, -v34, v35, 1.0
	s_delay_alu instid0(VALU_DEP_1) | instskip(NEXT) | instid1(VALU_DEP_3)
	v_fmac_f32_e32 v35, v14, v35
	v_dual_mul_f32 v38, v37, v33 :: v_dual_add_nc_u32 v15, 0x1800, v3
	s_delay_alu instid0(VALU_DEP_2) | instskip(SKIP_2) | instid1(VALU_DEP_1)
	v_mul_f32_e32 v40, v39, v35
	ds_load_2addr_b64 v[14:17], v15 offset0:239 offset1:255
	v_fma_f32 v18, -v32, v38, v37
	v_dual_fmac_f32 v38, v18, v33 :: v_dual_add_nc_u32 v19, 0x3800, v3
	v_fma_f32 v41, -v34, v40, v39
	ds_load_2addr_b64 v[18:21], v19 offset0:239 offset1:255
	v_fma_f32 v32, -v32, v38, v37
	s_wait_dscnt 0x2
	v_dual_mul_f32 v37, v7, -v26 :: v_dual_fmac_f32 v40, v41, v35
	v_mul_f32_e32 v7, v7, v27
	s_delay_alu instid0(VALU_DEP_3) | instskip(NEXT) | instid1(VALU_DEP_3)
	v_div_fmas_f32 v32, v32, v33, v38
	v_dual_fmac_f32 v37, v27, v6 :: v_dual_fma_f32 v27, -v34, v40, v39
	s_wait_dscnt 0x1
	s_delay_alu instid0(VALU_DEP_3) | instskip(NEXT) | instid1(VALU_DEP_3)
	v_dual_fmac_f32 v7, v26, v6 :: v_dual_mul_f32 v33, v13, -v16
	v_div_fixup_f32 v30, v32, v30, 1.0
	v_add_nc_u32_e32 v23, 0xffffff78, v3
	s_mov_b32 vcc_lo, s7
	v_mul_f32_e32 v13, v13, v17
	v_div_fmas_f32 v27, v27, v35, v40
	v_mul_f32_e32 v6, v37, v30
	ds_load_b64 v[28:29], v23
	ds_load_2addr_stride64_b64 v[22:25], v22 offset0:16 offset1:32
	v_fmac_f32_e32 v33, v17, v12
	v_div_fixup_f32 v27, v27, v31, 1.0
	v_dual_fmac_f32 v13, v16, v12 :: v_dual_mul_f32 v12, v30, v7
	s_wait_dscnt 0x2
	v_pk_mul_f32 v[16:17], v[6:7], v[18:19] op_sel:[0,1] op_sel_hi:[0,0] neg_lo:[0,1]
	v_pk_mul_f32 v[30:31], v[6:7], v[14:15] op_sel:[0,1] op_sel_hi:[0,0] neg_lo:[0,1]
	s_delay_alu instid0(VALU_DEP_3) | instskip(NEXT) | instid1(VALU_DEP_3)
	v_dual_mul_f32 v26, v33, v27 :: v_dual_mul_f32 v32, v27, v13
	v_pk_fma_f32 v[16:17], v[18:19], v[12:13], v[16:17] op_sel_hi:[1,0,1]
	s_delay_alu instid0(VALU_DEP_3) | instskip(NEXT) | instid1(VALU_DEP_3)
	v_pk_fma_f32 v[14:15], v[14:15], v[12:13], v[30:31] op_sel_hi:[1,0,1]
	v_pk_mul_f32 v[30:31], v[26:27], v[10:11] op_sel:[0,1] op_sel_hi:[0,0] neg_lo:[0,1]
	s_delay_alu instid0(VALU_DEP_3) | instskip(NEXT) | instid1(VALU_DEP_3)
	v_pk_add_f32 v[16:17], v[20:21], v[16:17] neg_lo:[0,1] neg_hi:[0,1]
	v_pk_add_f32 v[8:9], v[8:9], v[14:15] neg_lo:[0,1] neg_hi:[0,1]
	s_delay_alu instid0(VALU_DEP_3)
	v_pk_fma_f32 v[10:11], v[10:11], v[32:33], v[30:31] op_sel_hi:[1,0,1]
	s_wait_dscnt 0x1
	v_pk_mul_f32 v[6:7], v[6:7], v[28:29] op_sel:[0,1] op_sel_hi:[0,0] neg_hi:[0,1]
	s_wait_dscnt 0x0
	v_pk_mul_f32 v[18:19], v[26:27], v[24:25] op_sel:[0,1] op_sel_hi:[0,0] neg_lo:[0,1]
	v_pk_mul_f32 v[26:27], v[26:27], v[22:23] op_sel:[0,1] op_sel_hi:[0,0] neg_hi:[0,1]
	v_add_nc_u32_e32 v20, 0x1f8, v3
	v_pk_add_f32 v[8:9], v[8:9], v[10:11] neg_lo:[0,1] neg_hi:[0,1]
	v_pk_fma_f32 v[6:7], v[28:29], v[12:13], v[6:7] op_sel_hi:[1,0,1] neg_lo:[1,0,0] neg_hi:[1,0,0]
	v_pk_fma_f32 v[18:19], v[24:25], v[32:33], v[18:19] op_sel_hi:[1,0,1]
	v_pk_fma_f32 v[14:15], v[22:23], v[32:33], v[26:27] op_sel_hi:[1,0,1] neg_lo:[1,0,0] neg_hi:[1,0,0]
	s_delay_alu instid0(VALU_DEP_2)
	v_pk_add_f32 v[12:13], v[16:17], v[18:19] neg_lo:[0,1] neg_hi:[0,1]
	ds_store_b64 v3, v[12:13] offset:16376
	ds_store_b64 v36, v[6:7]
	ds_store_2addr_stride64_b64 v20, v[8:9], v[14:15] offset0:7 offset1:15
.LBB60_10:
	s_or_b32 exec_lo, exec_lo, s8
	v_cmp_gt_u32_e64 s8, 8, v0
	s_wait_dscnt 0x0
	s_barrier_signal -1
	s_barrier_wait -1
	s_and_saveexec_b32 s9, s8
	s_cbranch_execz .LBB60_12
; %bb.11:
	v_lshlrev_b32_e32 v3, 9, v2
	v_lshl_or_b32 v6, v2, 6, 31
	s_delay_alu instid0(VALU_DEP_2) | instskip(NEXT) | instid1(VALU_DEP_2)
	v_add_nc_u32_e32 v7, 0x800, v3
	v_min_u32_e32 v10, 0x1ff, v6
	ds_load_2addr_b64 v[6:9], v7 offset0:223 offset1:255
	v_lshlrev_b32_e32 v22, 3, v10
	ds_load_2addr_stride64_b64 v[10:13], v22 offset1:8
	s_wait_dscnt 0x1
	v_mul_f32_e32 v30, v7, v7
	s_delay_alu instid0(VALU_DEP_1)
	v_dual_add_nc_u32 v36, -8, v3 :: v_dual_fmac_f32 v30, v6, v6
	s_wait_dscnt 0x0
	v_mul_f32_e32 v31, v13, v13
	ds_load_b64 v[26:27], v36
	v_div_scale_f32 v32, null, v30, v30, 1.0
	v_fmac_f32_e32 v31, v12, v12
	v_div_scale_f32 v37, vcc_lo, 1.0, v30, 1.0
	s_delay_alu instid0(VALU_DEP_3) | instskip(NEXT) | instid1(VALU_DEP_2)
	v_rcp_f32_e32 v33, v32
	v_div_scale_f32 v34, null, v31, v31, 1.0
	v_div_scale_f32 v39, s7, 1.0, v31, 1.0
	s_delay_alu instid0(VALU_DEP_2) | instskip(NEXT) | instid1(TRANS32_DEP_2)
	v_rcp_f32_e32 v35, v34
	v_fma_f32 v14, -v32, v33, 1.0
	s_delay_alu instid0(VALU_DEP_1) | instskip(NEXT) | instid1(TRANS32_DEP_1)
	v_fmac_f32_e32 v33, v14, v33
	v_fma_f32 v14, -v34, v35, 1.0
	s_delay_alu instid0(VALU_DEP_1) | instskip(NEXT) | instid1(VALU_DEP_3)
	v_fmac_f32_e32 v35, v14, v35
	v_dual_mul_f32 v38, v37, v33 :: v_dual_add_nc_u32 v15, 0x1800, v3
	s_delay_alu instid0(VALU_DEP_2) | instskip(SKIP_2) | instid1(VALU_DEP_1)
	v_mul_f32_e32 v40, v39, v35
	ds_load_2addr_b64 v[14:17], v15 offset0:223 offset1:255
	v_fma_f32 v18, -v32, v38, v37
	v_dual_fmac_f32 v38, v18, v33 :: v_dual_add_nc_u32 v19, 0x3800, v3
	v_fma_f32 v41, -v34, v40, v39
	ds_load_2addr_b64 v[18:21], v19 offset0:223 offset1:255
	v_fma_f32 v32, -v32, v38, v37
	s_wait_dscnt 0x2
	v_dual_mul_f32 v37, v7, -v26 :: v_dual_fmac_f32 v40, v41, v35
	v_mul_f32_e32 v7, v7, v27
	s_delay_alu instid0(VALU_DEP_3) | instskip(NEXT) | instid1(VALU_DEP_3)
	v_div_fmas_f32 v32, v32, v33, v38
	v_dual_fmac_f32 v37, v27, v6 :: v_dual_fma_f32 v27, -v34, v40, v39
	s_wait_dscnt 0x1
	s_delay_alu instid0(VALU_DEP_3) | instskip(NEXT) | instid1(VALU_DEP_3)
	v_dual_fmac_f32 v7, v26, v6 :: v_dual_mul_f32 v33, v13, -v16
	v_div_fixup_f32 v30, v32, v30, 1.0
	v_add_nc_u32_e32 v23, 0xfffffef8, v3
	s_mov_b32 vcc_lo, s7
	v_mul_f32_e32 v13, v13, v17
	v_div_fmas_f32 v27, v27, v35, v40
	v_mul_f32_e32 v6, v37, v30
	ds_load_b64 v[28:29], v23
	ds_load_2addr_stride64_b64 v[22:25], v22 offset0:16 offset1:32
	v_fmac_f32_e32 v33, v17, v12
	v_div_fixup_f32 v27, v27, v31, 1.0
	v_dual_fmac_f32 v13, v16, v12 :: v_dual_mul_f32 v12, v30, v7
	s_wait_dscnt 0x2
	v_pk_mul_f32 v[16:17], v[6:7], v[18:19] op_sel:[0,1] op_sel_hi:[0,0] neg_lo:[0,1]
	v_pk_mul_f32 v[30:31], v[6:7], v[14:15] op_sel:[0,1] op_sel_hi:[0,0] neg_lo:[0,1]
	s_delay_alu instid0(VALU_DEP_3) | instskip(NEXT) | instid1(VALU_DEP_3)
	v_dual_mul_f32 v26, v33, v27 :: v_dual_mul_f32 v32, v27, v13
	v_pk_fma_f32 v[16:17], v[18:19], v[12:13], v[16:17] op_sel_hi:[1,0,1]
	s_delay_alu instid0(VALU_DEP_3) | instskip(NEXT) | instid1(VALU_DEP_3)
	v_pk_fma_f32 v[14:15], v[14:15], v[12:13], v[30:31] op_sel_hi:[1,0,1]
	v_pk_mul_f32 v[30:31], v[26:27], v[10:11] op_sel:[0,1] op_sel_hi:[0,0] neg_lo:[0,1]
	s_delay_alu instid0(VALU_DEP_3) | instskip(NEXT) | instid1(VALU_DEP_3)
	v_pk_add_f32 v[16:17], v[20:21], v[16:17] neg_lo:[0,1] neg_hi:[0,1]
	v_pk_add_f32 v[8:9], v[8:9], v[14:15] neg_lo:[0,1] neg_hi:[0,1]
	s_delay_alu instid0(VALU_DEP_3)
	v_pk_fma_f32 v[10:11], v[10:11], v[32:33], v[30:31] op_sel_hi:[1,0,1]
	s_wait_dscnt 0x1
	v_pk_mul_f32 v[6:7], v[6:7], v[28:29] op_sel:[0,1] op_sel_hi:[0,0] neg_hi:[0,1]
	s_wait_dscnt 0x0
	v_pk_mul_f32 v[18:19], v[26:27], v[24:25] op_sel:[0,1] op_sel_hi:[0,0] neg_lo:[0,1]
	v_pk_mul_f32 v[26:27], v[26:27], v[22:23] op_sel:[0,1] op_sel_hi:[0,0] neg_hi:[0,1]
	v_add_nc_u32_e32 v20, 0x1f8, v3
	v_pk_add_f32 v[8:9], v[8:9], v[10:11] neg_lo:[0,1] neg_hi:[0,1]
	v_pk_fma_f32 v[6:7], v[28:29], v[12:13], v[6:7] op_sel_hi:[1,0,1] neg_lo:[1,0,0] neg_hi:[1,0,0]
	v_pk_fma_f32 v[18:19], v[24:25], v[32:33], v[18:19] op_sel_hi:[1,0,1]
	v_pk_fma_f32 v[14:15], v[22:23], v[32:33], v[26:27] op_sel_hi:[1,0,1] neg_lo:[1,0,0] neg_hi:[1,0,0]
	s_delay_alu instid0(VALU_DEP_2)
	v_pk_add_f32 v[12:13], v[16:17], v[18:19] neg_lo:[0,1] neg_hi:[0,1]
	ds_store_b64 v3, v[12:13] offset:16376
	ds_store_b64 v36, v[6:7]
	ds_store_2addr_stride64_b64 v20, v[8:9], v[14:15] offset0:7 offset1:15
.LBB60_12:
	s_or_b32 exec_lo, exec_lo, s9
	v_cmp_gt_u32_e64 s9, 4, v0
	s_wait_dscnt 0x0
	s_barrier_signal -1
	s_barrier_wait -1
	s_and_saveexec_b32 s10, s9
	s_cbranch_execz .LBB60_14
; %bb.13:
	v_lshlrev_b32_e32 v3, 10, v2
	v_lshl_or_b32 v6, v2, 7, 63
	s_delay_alu instid0(VALU_DEP_2) | instskip(NEXT) | instid1(VALU_DEP_2)
	v_add_nc_u32_e32 v33, 0x1f8, v3
	v_min_u32_e32 v10, 0x1ff, v6
	ds_load_2addr_stride64_b64 v[6:9], v33 offset0:6 offset1:7
	s_wait_dscnt 0x0
	v_dual_lshlrev_b32 v22, 3, v10 :: v_dual_mul_f32 v30, v7, v7
	s_delay_alu instid0(VALU_DEP_1)
	v_dual_fmac_f32 v30, v6, v6 :: v_dual_add_nc_u32 v37, -8, v3
	ds_load_2addr_stride64_b64 v[10:13], v22 offset1:8
	ds_load_2addr_stride64_b64 v[14:17], v33 offset0:14 offset1:15
	ds_load_b64 v[26:27], v37
	v_div_scale_f32 v32, null, v30, v30, 1.0
	v_div_scale_f32 v38, vcc_lo, 1.0, v30, 1.0
	s_delay_alu instid0(VALU_DEP_2) | instskip(SKIP_1) | instid1(TRANS32_DEP_1)
	v_rcp_f32_e32 v34, v32
	v_nop
	v_fma_f32 v18, -v32, v34, 1.0
	s_wait_dscnt 0x2
	v_mul_f32_e32 v31, v13, v13
	s_delay_alu instid0(VALU_DEP_1) | instskip(NEXT) | instid1(VALU_DEP_1)
	v_fmac_f32_e32 v31, v12, v12
	v_div_scale_f32 v35, null, v31, v31, 1.0
	v_div_scale_f32 v40, s7, 1.0, v31, 1.0
	s_delay_alu instid0(VALU_DEP_2) | instskip(SKIP_1) | instid1(TRANS32_DEP_1)
	v_rcp_f32_e32 v36, v35
	v_fmac_f32_e32 v34, v18, v34
	v_fma_f32 v18, -v35, v36, 1.0
	s_delay_alu instid0(VALU_DEP_1) | instskip(NEXT) | instid1(VALU_DEP_1)
	v_fmac_f32_e32 v36, v18, v36
	v_dual_mul_f32 v39, v38, v34 :: v_dual_mul_f32 v41, v40, v36
	s_delay_alu instid0(VALU_DEP_1) | instskip(NEXT) | instid1(VALU_DEP_1)
	v_dual_fma_f32 v18, -v32, v39, v38 :: v_dual_fma_f32 v42, -v35, v41, v40
	v_fmac_f32_e32 v39, v18, v34
	ds_load_2addr_stride64_b64 v[18:21], v33 offset0:30 offset1:31
	v_dual_fmac_f32 v41, v42, v36 :: v_dual_fma_f32 v32, -v32, v39, v38
	s_wait_dscnt 0x1
	v_mul_f32_e64 v38, v7, -v26
	v_add_nc_u32_e32 v23, 0xfffffdf8, v3
	v_mul_f32_e32 v7, v7, v27
	v_div_fmas_f32 v32, v32, v34, v39
	s_delay_alu instid0(VALU_DEP_4)
	v_fmac_f32_e32 v38, v27, v6
	ds_load_b64 v[28:29], v23
	ds_load_2addr_stride64_b64 v[22:25], v22 offset0:16 offset1:32
	s_mov_b32 vcc_lo, s7
	v_fmac_f32_e32 v7, v26, v6
	v_div_fixup_f32 v30, v32, v30, 1.0
	v_dual_mul_f32 v34, v13, -v16 :: v_dual_mul_f32 v13, v13, v17
	s_delay_alu instid0(VALU_DEP_2) | instskip(NEXT) | instid1(VALU_DEP_2)
	v_dual_fma_f32 v27, -v35, v41, v40 :: v_dual_mul_f32 v6, v38, v30
	v_dual_fmac_f32 v34, v17, v12 :: v_dual_fmac_f32 v13, v16, v12
	s_delay_alu instid0(VALU_DEP_2) | instskip(SKIP_1) | instid1(VALU_DEP_3)
	v_div_fmas_f32 v27, v27, v36, v41
	s_wait_dscnt 0x2
	v_pk_mul_f32 v[16:17], v[6:7], v[18:19] op_sel:[0,1] op_sel_hi:[0,0] neg_lo:[0,1]
	s_delay_alu instid0(VALU_DEP_2)
	v_div_fixup_f32 v27, v27, v31, 1.0
	v_mul_f32_e32 v12, v30, v7
	v_pk_mul_f32 v[30:31], v[6:7], v[14:15] op_sel:[0,1] op_sel_hi:[0,0] neg_lo:[0,1]
	s_wait_dscnt 0x1
	v_pk_mul_f32 v[6:7], v[6:7], v[28:29] op_sel:[0,1] op_sel_hi:[0,0] neg_hi:[0,1]
	v_dual_mul_f32 v26, v34, v27 :: v_dual_mul_f32 v32, v27, v13
	v_pk_fma_f32 v[16:17], v[18:19], v[12:13], v[16:17] op_sel_hi:[1,0,1]
	v_pk_fma_f32 v[14:15], v[14:15], v[12:13], v[30:31] op_sel_hi:[1,0,1]
	s_delay_alu instid0(VALU_DEP_4)
	v_pk_fma_f32 v[6:7], v[28:29], v[12:13], v[6:7] op_sel_hi:[1,0,1] neg_lo:[1,0,0] neg_hi:[1,0,0]
	s_wait_dscnt 0x0
	v_pk_mul_f32 v[18:19], v[26:27], v[24:25] op_sel:[0,1] op_sel_hi:[0,0] neg_lo:[0,1]
	v_pk_mul_f32 v[30:31], v[26:27], v[10:11] op_sel:[0,1] op_sel_hi:[0,0] neg_lo:[0,1]
	v_pk_add_f32 v[16:17], v[20:21], v[16:17] neg_lo:[0,1] neg_hi:[0,1]
	v_pk_mul_f32 v[26:27], v[26:27], v[22:23] op_sel:[0,1] op_sel_hi:[0,0] neg_hi:[0,1]
	v_pk_add_f32 v[8:9], v[8:9], v[14:15] neg_lo:[0,1] neg_hi:[0,1]
	v_pk_fma_f32 v[18:19], v[24:25], v[32:33], v[18:19] op_sel_hi:[1,0,1]
	v_pk_fma_f32 v[10:11], v[10:11], v[32:33], v[30:31] op_sel_hi:[1,0,1]
	s_delay_alu instid0(VALU_DEP_4) | instskip(NEXT) | instid1(VALU_DEP_3)
	v_pk_fma_f32 v[14:15], v[22:23], v[32:33], v[26:27] op_sel_hi:[1,0,1] neg_lo:[1,0,0] neg_hi:[1,0,0]
	v_pk_add_f32 v[12:13], v[16:17], v[18:19] neg_lo:[0,1] neg_hi:[0,1]
	s_delay_alu instid0(VALU_DEP_3)
	v_pk_add_f32 v[8:9], v[8:9], v[10:11] neg_lo:[0,1] neg_hi:[0,1]
	ds_store_b64 v3, v[12:13] offset:16376
	ds_store_b64 v37, v[6:7]
	ds_store_2addr_stride64_b64 v33, v[8:9], v[14:15] offset0:7 offset1:15
.LBB60_14:
	s_or_b32 exec_lo, exec_lo, s10
	v_cmp_gt_u32_e64 s10, 2, v0
	s_wait_dscnt 0x0
	s_barrier_signal -1
	s_barrier_wait -1
	s_and_saveexec_b32 s12, s10
	s_cbranch_execz .LBB60_16
; %bb.15:
	v_lshlrev_b32_e32 v31, 11, v2
	v_lshl_or_b32 v2, v2, 8, 0x7f
	s_delay_alu instid0(VALU_DEP_1) | instskip(NEXT) | instid1(VALU_DEP_1)
	v_min_u32_e32 v2, 0x1ff, v2
	v_dual_lshlrev_b32 v22, 3, v2 :: v_dual_add_nc_u32 v36, -8, v31
	v_add_nc_u32_e32 v23, 0xfffffbf8, v31
	ds_load_2addr_stride64_b64 v[10:13], v22 offset1:8
	s_wait_dscnt 0x0
	v_dual_mul_f32 v29, v13, v13 :: v_dual_add_nc_u32 v32, 0x1f8, v31
	ds_load_2addr_stride64_b64 v[6:9], v32 offset0:5 offset1:7
	v_fmac_f32_e32 v29, v12, v12
	s_delay_alu instid0(VALU_DEP_1) | instskip(SKIP_1) | instid1(VALU_DEP_2)
	v_div_scale_f32 v34, null, v29, v29, 1.0
	v_div_scale_f32 v39, s7, 1.0, v29, 1.0
	v_rcp_f32_e32 v35, v34
	s_wait_dscnt 0x0
	v_mul_f32_e32 v28, v7, v7
	s_delay_alu instid0(TRANS32_DEP_1) | instskip(NEXT) | instid1(VALU_DEP_2)
	v_fma_f32 v14, -v34, v35, 1.0
	v_fmac_f32_e32 v28, v6, v6
	s_delay_alu instid0(VALU_DEP_2) | instskip(SKIP_4) | instid1(VALU_DEP_3)
	v_fmac_f32_e32 v35, v14, v35
	ds_load_2addr_stride64_b64 v[14:17], v32 offset0:13 offset1:15
	v_div_scale_f32 v30, null, v28, v28, 1.0
	v_div_scale_f32 v37, vcc_lo, 1.0, v28, 1.0
	v_mul_f32_e32 v40, v39, v35
	v_rcp_f32_e32 v33, v30
	v_nop
	s_delay_alu instid0(TRANS32_DEP_1) | instskip(NEXT) | instid1(VALU_DEP_1)
	v_fma_f32 v2, -v30, v33, 1.0
	v_fmac_f32_e32 v33, v2, v33
	ds_load_b64 v[2:3], v36
	v_dual_fma_f32 v41, -v34, v40, v39 :: v_dual_mul_f32 v38, v37, v33
	s_delay_alu instid0(VALU_DEP_1) | instskip(NEXT) | instid1(VALU_DEP_1)
	v_fma_f32 v18, -v30, v38, v37
	v_fmac_f32_e32 v38, v18, v33
	ds_load_2addr_stride64_b64 v[18:21], v32 offset0:29 offset1:31
	ds_load_b64 v[26:27], v23
	ds_load_2addr_stride64_b64 v[22:25], v22 offset0:16 offset1:32
	v_fma_f32 v30, -v30, v38, v37
	s_wait_dscnt 0x3
	v_dual_mul_f32 v37, v7, -v2 :: v_dual_mul_f32 v7, v7, v3
	v_fmac_f32_e32 v40, v41, v35
	s_delay_alu instid0(VALU_DEP_3) | instskip(NEXT) | instid1(VALU_DEP_3)
	v_div_fmas_f32 v30, v30, v33, v38
	v_fmac_f32_e32 v37, v3, v6
	s_mov_b32 vcc_lo, s7
	s_delay_alu instid0(VALU_DEP_3) | instskip(SKIP_3) | instid1(VALU_DEP_4)
	v_fma_f32 v3, -v34, v40, v39
	v_dual_mul_f32 v33, v13, -v16 :: v_dual_fmac_f32 v7, v2, v6
	v_div_fixup_f32 v28, v30, v28, 1.0
	v_mul_f32_e32 v30, v13, v17
	v_div_fmas_f32 v3, v3, v35, v40
	s_delay_alu instid0(VALU_DEP_3) | instskip(NEXT) | instid1(VALU_DEP_3)
	v_dual_mul_f32 v6, v28, v7 :: v_dual_fmac_f32 v33, v17, v12
	v_fmac_f32_e32 v30, v16, v12
	s_delay_alu instid0(VALU_DEP_3) | instskip(NEXT) | instid1(VALU_DEP_1)
	v_div_fixup_f32 v3, v3, v29, 1.0
	v_dual_mul_f32 v2, v37, v28 :: v_dual_mul_f32 v30, v3, v30
	s_wait_dscnt 0x2
	s_delay_alu instid0(VALU_DEP_1)
	v_pk_mul_f32 v[12:13], v[2:3], v[18:19] op_sel:[0,1] op_sel_hi:[0,0] neg_lo:[0,1]
	v_mul_f32_e32 v16, v33, v3
	v_pk_mul_f32 v[28:29], v[2:3], v[14:15] op_sel:[0,1] op_sel_hi:[0,0] neg_lo:[0,1]
	s_wait_dscnt 0x1
	v_pk_mul_f32 v[2:3], v[2:3], v[26:27] op_sel:[0,1] op_sel_hi:[0,0] neg_hi:[0,1]
	v_pk_fma_f32 v[12:13], v[18:19], v[6:7], v[12:13] op_sel_hi:[1,0,1]
	s_wait_dscnt 0x0
	v_pk_mul_f32 v[18:19], v[16:17], v[24:25] op_sel:[0,1] op_sel_hi:[0,0] neg_lo:[0,1]
	v_pk_fma_f32 v[14:15], v[14:15], v[6:7], v[28:29] op_sel_hi:[1,0,1]
	v_pk_mul_f32 v[28:29], v[16:17], v[10:11] op_sel:[0,1] op_sel_hi:[0,0] neg_lo:[0,1]
	v_pk_mul_f32 v[16:17], v[16:17], v[22:23] op_sel:[0,1] op_sel_hi:[0,0] neg_hi:[0,1]
	v_pk_add_f32 v[12:13], v[20:21], v[12:13] neg_lo:[0,1] neg_hi:[0,1]
	v_pk_fma_f32 v[18:19], v[24:25], v[30:31], v[18:19] op_sel_hi:[1,0,1]
	v_pk_add_f32 v[8:9], v[8:9], v[14:15] neg_lo:[0,1] neg_hi:[0,1]
	v_pk_fma_f32 v[10:11], v[10:11], v[30:31], v[28:29] op_sel_hi:[1,0,1]
	v_pk_fma_f32 v[2:3], v[26:27], v[6:7], v[2:3] op_sel_hi:[1,0,1] neg_lo:[1,0,0] neg_hi:[1,0,0]
	s_delay_alu instid0(VALU_DEP_4) | instskip(SKIP_1) | instid1(VALU_DEP_4)
	v_pk_add_f32 v[6:7], v[12:13], v[18:19] neg_lo:[0,1] neg_hi:[0,1]
	v_pk_fma_f32 v[12:13], v[22:23], v[30:31], v[16:17] op_sel_hi:[1,0,1] neg_lo:[1,0,0] neg_hi:[1,0,0]
	v_pk_add_f32 v[8:9], v[8:9], v[10:11] neg_lo:[0,1] neg_hi:[0,1]
	ds_store_b64 v31, v[6:7] offset:16376
	ds_store_b64 v36, v[2:3]
	ds_store_2addr_stride64_b64 v32, v[8:9], v[12:13] offset0:7 offset1:15
.LBB60_16:
	s_or_b32 exec_lo, exec_lo, s12
	v_cmp_ne_u32_e64 s7, 0, v0
	s_mov_b32 s12, exec_lo
	s_wait_dscnt 0x0
	s_barrier_signal -1
	s_barrier_wait -1
	v_cmpx_eq_u32_e32 0, v0
	s_cbranch_execz .LBB60_18
; %bb.17:
	v_add_nc_u32_e64 v21, 0x1f8, 0
	ds_load_2addr_stride64_b64 v[6:9], v21 offset0:15 offset1:19
	ds_load_2addr_stride64_b64 v[10:13], v21 offset0:7 offset1:11
	s_wait_dscnt 0x0
	v_pk_mul_f32 v[2:3], v[12:13], v[6:7] op_sel:[1,1] op_sel_hi:[1,0] neg_lo:[0,1]
	v_pk_mul_f32 v[14:15], v[10:11], v[8:9] op_sel:[1,1] op_sel_hi:[1,0] neg_lo:[0,1]
	s_delay_alu instid0(VALU_DEP_2) | instskip(NEXT) | instid1(VALU_DEP_2)
	v_pk_fma_f32 v[2:3], v[6:7], v[12:13], v[2:3] op_sel_hi:[1,0,1]
	v_pk_fma_f32 v[14:15], v[8:9], v[10:11], v[14:15] op_sel_hi:[1,0,1]
	s_delay_alu instid0(VALU_DEP_1) | instskip(NEXT) | instid1(VALU_DEP_1)
	v_pk_add_f32 v[2:3], v[2:3], v[14:15] neg_lo:[0,1] neg_hi:[0,1]
	v_dual_mov_b32 v15, 0 :: v_dual_mul_f32 v25, v3, v3
	v_xor_b32_e32 v33, 0x80000000, v3
	s_delay_alu instid0(VALU_DEP_2) | instskip(NEXT) | instid1(VALU_DEP_2)
	v_dual_fma_f32 v3, 0, v3, v2 :: v_dual_fmac_f32 v25, v2, v2
	v_fmac_f32_e32 v33, 0, v2
	s_delay_alu instid0(VALU_DEP_2) | instskip(SKIP_1) | instid1(VALU_DEP_2)
	v_div_scale_f32 v14, null, v25, v25, 1.0
	v_div_scale_f32 v31, vcc_lo, 1.0, v25, 1.0
	v_rcp_f32_e32 v30, v14
	v_xor_b32_e32 v28, 0x80000000, v14
	ds_load_b32 v14, v15 offset:18428
	ds_load_b32 v16, v15 offset:20476
	ds_load_b64 v[18:19], v15 offset:20472
	ds_load_b32 v20, v15 offset:20472
	ds_load_b64 v[22:23], v15 offset:18424
	ds_load_b32 v24, v15 offset:18424
	v_fma_f32 v17, v28, v30, 1.0
	s_delay_alu instid0(VALU_DEP_1) | instskip(NEXT) | instid1(VALU_DEP_1)
	v_fmac_f32_e32 v30, v17, v30
	v_mul_f32_e32 v32, v31, v30
	s_wait_dscnt 0x4
	v_pk_mul_f32 v[16:17], v[16:17], v[8:9] op_sel:[0,1] op_sel_hi:[0,0] neg_lo:[0,1]
	s_delay_alu instid0(VALU_DEP_2)
	v_fma_f32 v15, v28, v32, v31
	s_wait_dscnt 0x3
	v_pk_mul_f32 v[26:27], v[12:13], v[18:19] op_sel:[1,1] op_sel_hi:[1,0] neg_lo:[0,1]
	s_wait_dscnt 0x2
	v_pk_fma_f32 v[8:9], v[8:9], v[20:21], v[16:17] op_sel_hi:[1,0,1]
	v_fmac_f32_e32 v32, v15, v30
	v_pk_mul_f32 v[14:15], v[14:15], v[6:7] op_sel:[0,1] op_sel_hi:[0,0] neg_lo:[0,1]
	v_pk_fma_f32 v[12:13], v[18:19], v[12:13], v[26:27] op_sel_hi:[1,0,1]
	s_delay_alu instid0(VALU_DEP_3)
	v_fmac_f32_e32 v31, v28, v32
	s_wait_dscnt 0x1
	v_pk_mul_f32 v[28:29], v[10:11], v[22:23] op_sel:[1,1] op_sel_hi:[1,0] neg_lo:[0,1]
	s_wait_dscnt 0x0
	v_pk_fma_f32 v[6:7], v[6:7], v[24:25], v[14:15] op_sel_hi:[1,0,1]
	v_div_fmas_f32 v30, v31, v30, v32
	s_delay_alu instid0(VALU_DEP_3) | instskip(NEXT) | instid1(VALU_DEP_3)
	v_pk_fma_f32 v[10:11], v[22:23], v[10:11], v[28:29] op_sel_hi:[1,0,1]
	v_pk_add_f32 v[6:7], v[6:7], v[8:9] neg_lo:[0,1] neg_hi:[0,1]
	s_delay_alu instid0(VALU_DEP_3) | instskip(NEXT) | instid1(VALU_DEP_3)
	v_div_fixup_f32 v14, v30, v25, 1.0
	v_pk_add_f32 v[8:9], v[12:13], v[10:11] neg_lo:[0,1] neg_hi:[0,1]
	s_delay_alu instid0(VALU_DEP_2) | instskip(NEXT) | instid1(VALU_DEP_1)
	v_dual_mul_f32 v2, v33, v14 :: v_dual_mul_f32 v10, v3, v14
	v_pk_mul_f32 v[12:13], v[2:3], v[6:7] op_sel:[0,1] op_sel_hi:[0,0] neg_lo:[0,1]
	s_delay_alu instid0(VALU_DEP_3) | instskip(NEXT) | instid1(VALU_DEP_2)
	v_pk_mul_f32 v[2:3], v[2:3], v[8:9] op_sel:[0,1] op_sel_hi:[0,0] neg_lo:[0,1]
	v_pk_fma_f32 v[6:7], v[6:7], v[10:11], v[12:13] op_sel_hi:[1,0,1]
	s_delay_alu instid0(VALU_DEP_2)
	v_pk_fma_f32 v[2:3], v[8:9], v[10:11], v[2:3] op_sel_hi:[1,0,1]
	ds_store_2addr_stride64_b64 v21, v[6:7], v[2:3] offset0:27 offset1:31
.LBB60_18:
	s_or_b32 exec_lo, exec_lo, s12
	s_load_b64 s[12:13], s[0:1], 0x30
	s_wait_dscnt 0x0
	s_barrier_signal -1
	s_barrier_wait -1
	s_and_saveexec_b32 s14, s10
	s_cbranch_execz .LBB60_24
; %bb.19:
	v_lshlrev_b32_e32 v2, 8, v0
	v_lshl_add_u32 v7, v0, 11, 0x4000
	s_delay_alu instid0(VALU_DEP_2) | instskip(SKIP_1) | instid1(SALU_CYCLE_1)
	v_lshlrev_b32_e32 v6, 3, v2
                                        ; implicit-def: $vgpr2_vgpr3
	s_and_saveexec_b32 s10, s7
	s_xor_b32 s10, exec_lo, s10
	s_cbranch_execz .LBB60_21
; %bb.20:
	s_delay_alu instid0(VALU_DEP_1)
	v_add_nc_u32_e32 v2, 0x1f8, v6
	ds_load_b64 v[16:17], v7 offset:1016
	ds_load_2addr_stride64_b64 v[8:11], v2 offset0:1 offset1:9
	ds_load_2addr_stride64_b64 v[12:15], v2 offset0:17 offset1:23
	ds_load_b64 v[2:3], v6 offset:14328
	s_wait_dscnt 0x2
	v_mul_f32_e32 v22, v11, v11
	s_wait_dscnt 0x0
	v_pk_mul_f32 v[20:21], v[2:3], v[12:13] op_sel:[1,1] op_sel_hi:[1,0] neg_lo:[0,1]
	s_delay_alu instid0(VALU_DEP_2) | instskip(NEXT) | instid1(VALU_DEP_2)
	v_fmac_f32_e32 v22, v10, v10
	v_pk_fma_f32 v[2:3], v[12:13], v[2:3], v[20:21] op_sel_hi:[1,0,1]
	s_delay_alu instid0(VALU_DEP_2) | instskip(SKIP_1) | instid1(VALU_DEP_2)
	v_div_scale_f32 v23, null, v22, v22, 1.0
	v_div_scale_f32 v7, vcc_lo, 1.0, v22, 1.0
	v_rcp_f32_e32 v24, v23
	v_nop
	s_delay_alu instid0(TRANS32_DEP_1) | instskip(NEXT) | instid1(VALU_DEP_1)
	v_fma_f32 v18, -v23, v24, 1.0
	v_fmac_f32_e32 v24, v18, v24
	v_pk_mul_f32 v[18:19], v[14:15], v[8:9] op_sel:[1,1] op_sel_hi:[1,0] neg_lo:[0,1]
	s_delay_alu instid0(VALU_DEP_2) | instskip(NEXT) | instid1(VALU_DEP_2)
	v_mul_f32_e32 v25, v7, v24
	v_pk_fma_f32 v[8:9], v[8:9], v[14:15], v[18:19] op_sel_hi:[1,0,1]
	s_delay_alu instid0(VALU_DEP_2) | instskip(NEXT) | instid1(VALU_DEP_2)
	v_fma_f32 v26, -v23, v25, v7
	v_pk_add_f32 v[8:9], v[16:17], v[8:9] neg_lo:[0,1] neg_hi:[0,1]
	s_delay_alu instid0(VALU_DEP_2) | instskip(NEXT) | instid1(VALU_DEP_2)
	v_fmac_f32_e32 v25, v26, v24
	v_pk_add_f32 v[2:3], v[8:9], v[2:3] neg_lo:[0,1] neg_hi:[0,1]
	s_delay_alu instid0(VALU_DEP_2) | instskip(NEXT) | instid1(VALU_DEP_2)
	v_fma_f32 v7, -v23, v25, v7
	v_pk_mul_f32 v[8:9], v[10:11], v[2:3] op_sel:[1,1] op_sel_hi:[1,0] neg_hi:[0,1]
	s_delay_alu instid0(VALU_DEP_2) | instskip(NEXT) | instid1(VALU_DEP_2)
	v_div_fmas_f32 v7, v7, v24, v25
	v_pk_fma_f32 v[2:3], v[2:3], v[10:11], v[8:9] op_sel_hi:[1,0,1]
	s_delay_alu instid0(VALU_DEP_2) | instskip(NEXT) | instid1(VALU_DEP_1)
	v_div_fixup_f32 v12, v7, v22, 1.0
                                        ; implicit-def: $vgpr7
	v_pk_mul_f32 v[2:3], v[12:13], v[2:3] op_sel_hi:[0,1]
.LBB60_21:
	s_and_not1_saveexec_b32 s10, s10
	s_cbranch_execz .LBB60_23
; %bb.22:
	v_add_nc_u32_e32 v2, 0x1f8, v6
	ds_load_2addr_stride64_b64 v[8:11], v2 offset0:9 offset1:17
	ds_load_b64 v[2:3], v6 offset:14328
	s_wait_dscnt 0x1
	v_mul_f32_e32 v16, v9, v9
	s_delay_alu instid0(VALU_DEP_1) | instskip(NEXT) | instid1(VALU_DEP_1)
	v_fmac_f32_e32 v16, v8, v8
	v_div_scale_f32 v17, null, v16, v16, 1.0
	v_div_scale_f32 v19, vcc_lo, 1.0, v16, 1.0
	s_delay_alu instid0(VALU_DEP_2) | instskip(SKIP_1) | instid1(TRANS32_DEP_1)
	v_rcp_f32_e32 v18, v17
	v_nop
	v_fma_f32 v12, -v17, v18, 1.0
	s_delay_alu instid0(VALU_DEP_1) | instskip(SKIP_4) | instid1(VALU_DEP_2)
	v_fmac_f32_e32 v18, v12, v18
	ds_load_b64 v[12:13], v7 offset:1016
	s_wait_dscnt 0x1
	v_pk_mul_f32 v[14:15], v[2:3], v[10:11] op_sel:[1,1] op_sel_hi:[1,0] neg_lo:[0,1]
	v_mul_f32_e32 v7, v19, v18
	v_pk_fma_f32 v[2:3], v[10:11], v[2:3], v[14:15] op_sel_hi:[1,0,1]
	s_delay_alu instid0(VALU_DEP_2) | instskip(NEXT) | instid1(VALU_DEP_1)
	v_fma_f32 v20, -v17, v7, v19
	v_fmac_f32_e32 v7, v20, v18
	s_delay_alu instid0(VALU_DEP_1) | instskip(SKIP_2) | instid1(VALU_DEP_2)
	v_fma_f32 v10, -v17, v7, v19
	s_wait_dscnt 0x0
	v_pk_add_f32 v[2:3], v[12:13], v[2:3] neg_lo:[0,1] neg_hi:[0,1]
	v_div_fmas_f32 v7, v10, v18, v7
	s_delay_alu instid0(VALU_DEP_2) | instskip(NEXT) | instid1(VALU_DEP_2)
	v_pk_mul_f32 v[10:11], v[8:9], v[2:3] op_sel:[1,1] op_sel_hi:[1,0] neg_hi:[0,1]
	v_div_fixup_f32 v12, v7, v16, 1.0
	s_delay_alu instid0(VALU_DEP_2) | instskip(NEXT) | instid1(VALU_DEP_1)
	v_pk_fma_f32 v[2:3], v[2:3], v[8:9], v[10:11] op_sel_hi:[1,0,1]
	v_pk_mul_f32 v[2:3], v[12:13], v[2:3] op_sel_hi:[0,1]
.LBB60_23:
	s_or_b32 exec_lo, exec_lo, s10
	ds_store_b64 v6, v[2:3] offset:13304
.LBB60_24:
	s_or_b32 exec_lo, exec_lo, s14
	v_or_b32_e32 v6, 0x3000, v1
	s_wait_dscnt 0x0
	s_barrier_signal -1
	s_barrier_wait -1
	s_and_saveexec_b32 s10, s9
	s_cbranch_execz .LBB60_30
; %bb.25:
	v_lshlrev_b32_e32 v2, 7, v0
	v_lshl_add_u32 v8, v0, 10, 0x4000
	s_delay_alu instid0(VALU_DEP_2) | instskip(SKIP_1) | instid1(SALU_CYCLE_1)
	v_lshlrev_b32_e32 v7, 3, v2
                                        ; implicit-def: $vgpr2_vgpr3
	s_and_saveexec_b32 s9, s7
	s_xor_b32 s9, exec_lo, s9
	s_cbranch_execz .LBB60_27
; %bb.26:
	s_delay_alu instid0(VALU_DEP_1)
	v_add_nc_u32_e32 v2, 0x1f8, v7
	ds_load_b64 v[8:9], v8 offset:504
	ds_load_2addr_stride64_b64 v[10:13], v2 offset1:8
	ds_load_2addr_stride64_b64 v[14:17], v2 offset0:16 offset1:23
	ds_load_b64 v[2:3], v7 offset:13304
	s_wait_dscnt 0x2
	v_mul_f32_e32 v22, v13, v13
	s_wait_dscnt 0x0
	v_pk_mul_f32 v[20:21], v[2:3], v[14:15] op_sel:[1,1] op_sel_hi:[1,0] neg_lo:[0,1]
	s_delay_alu instid0(VALU_DEP_2) | instskip(NEXT) | instid1(VALU_DEP_2)
	v_fmac_f32_e32 v22, v12, v12
	v_pk_fma_f32 v[2:3], v[14:15], v[2:3], v[20:21] op_sel_hi:[1,0,1]
	s_delay_alu instid0(VALU_DEP_2) | instskip(SKIP_1) | instid1(VALU_DEP_2)
	v_div_scale_f32 v23, null, v22, v22, 1.0
	v_div_scale_f32 v25, vcc_lo, 1.0, v22, 1.0
	v_rcp_f32_e32 v24, v23
	v_nop
	s_delay_alu instid0(TRANS32_DEP_1) | instskip(NEXT) | instid1(VALU_DEP_1)
	v_fma_f32 v18, -v23, v24, 1.0
	v_fmac_f32_e32 v24, v18, v24
	v_pk_mul_f32 v[18:19], v[16:17], v[10:11] op_sel:[1,1] op_sel_hi:[1,0] neg_lo:[0,1]
	s_delay_alu instid0(VALU_DEP_2) | instskip(NEXT) | instid1(VALU_DEP_2)
	v_mul_f32_e32 v26, v25, v24
	v_pk_fma_f32 v[10:11], v[10:11], v[16:17], v[18:19] op_sel_hi:[1,0,1]
	s_delay_alu instid0(VALU_DEP_2) | instskip(NEXT) | instid1(VALU_DEP_2)
	v_fma_f32 v27, -v23, v26, v25
	v_pk_add_f32 v[8:9], v[8:9], v[10:11] neg_lo:[0,1] neg_hi:[0,1]
	s_delay_alu instid0(VALU_DEP_2) | instskip(NEXT) | instid1(VALU_DEP_2)
	v_fmac_f32_e32 v26, v27, v24
	v_pk_add_f32 v[2:3], v[8:9], v[2:3] neg_lo:[0,1] neg_hi:[0,1]
	s_delay_alu instid0(VALU_DEP_2) | instskip(NEXT) | instid1(VALU_DEP_2)
	v_fma_f32 v10, -v23, v26, v25
	v_pk_mul_f32 v[8:9], v[12:13], v[2:3] op_sel:[1,1] op_sel_hi:[1,0] neg_hi:[0,1]
	s_delay_alu instid0(VALU_DEP_2) | instskip(NEXT) | instid1(VALU_DEP_2)
	v_div_fmas_f32 v10, v10, v24, v26
	v_pk_fma_f32 v[2:3], v[2:3], v[12:13], v[8:9] op_sel_hi:[1,0,1]
                                        ; implicit-def: $vgpr8
	s_delay_alu instid0(VALU_DEP_2) | instskip(NEXT) | instid1(VALU_DEP_1)
	v_div_fixup_f32 v10, v10, v22, 1.0
	v_pk_mul_f32 v[2:3], v[10:11], v[2:3] op_sel_hi:[0,1]
.LBB60_27:
	s_and_not1_saveexec_b32 s9, s9
	s_cbranch_execz .LBB60_29
; %bb.28:
	v_add_nc_u32_e32 v2, 0x1f8, v7
	ds_load_2addr_stride64_b64 v[10:13], v2 offset0:8 offset1:16
	ds_load_b64 v[2:3], v7 offset:13304
	s_wait_dscnt 0x1
	v_mul_f32_e32 v16, v11, v11
	s_delay_alu instid0(VALU_DEP_1) | instskip(NEXT) | instid1(VALU_DEP_1)
	v_fmac_f32_e32 v16, v10, v10
	v_div_scale_f32 v17, null, v16, v16, 1.0
	v_div_scale_f32 v19, vcc_lo, 1.0, v16, 1.0
	s_delay_alu instid0(VALU_DEP_2) | instskip(SKIP_1) | instid1(TRANS32_DEP_1)
	v_rcp_f32_e32 v18, v17
	v_nop
	v_fma_f32 v9, -v17, v18, 1.0
	s_delay_alu instid0(VALU_DEP_1) | instskip(SKIP_4) | instid1(VALU_DEP_2)
	v_fmac_f32_e32 v18, v9, v18
	ds_load_b64 v[8:9], v8 offset:504
	s_wait_dscnt 0x1
	v_pk_mul_f32 v[14:15], v[2:3], v[12:13] op_sel:[1,1] op_sel_hi:[1,0] neg_lo:[0,1]
	v_mul_f32_e32 v20, v19, v18
	v_pk_fma_f32 v[2:3], v[12:13], v[2:3], v[14:15] op_sel_hi:[1,0,1]
	s_delay_alu instid0(VALU_DEP_2) | instskip(NEXT) | instid1(VALU_DEP_1)
	v_fma_f32 v21, -v17, v20, v19
	v_fmac_f32_e32 v20, v21, v18
	s_delay_alu instid0(VALU_DEP_1) | instskip(SKIP_2) | instid1(VALU_DEP_2)
	v_fma_f32 v12, -v17, v20, v19
	s_wait_dscnt 0x0
	v_pk_add_f32 v[2:3], v[8:9], v[2:3] neg_lo:[0,1] neg_hi:[0,1]
	v_div_fmas_f32 v12, v12, v18, v20
	s_delay_alu instid0(VALU_DEP_2) | instskip(NEXT) | instid1(VALU_DEP_2)
	v_pk_mul_f32 v[8:9], v[10:11], v[2:3] op_sel:[1,1] op_sel_hi:[1,0] neg_hi:[0,1]
	v_div_fixup_f32 v12, v12, v16, 1.0
	s_delay_alu instid0(VALU_DEP_2) | instskip(NEXT) | instid1(VALU_DEP_1)
	v_pk_fma_f32 v[2:3], v[2:3], v[10:11], v[8:9] op_sel_hi:[1,0,1]
	v_pk_mul_f32 v[2:3], v[12:13], v[2:3] op_sel_hi:[0,1]
.LBB60_29:
	s_or_b32 exec_lo, exec_lo, s9
	ds_store_b64 v7, v[2:3] offset:12792
.LBB60_30:
	s_or_b32 exec_lo, exec_lo, s10
	s_wait_dscnt 0x0
	s_barrier_signal -1
	s_barrier_wait -1
	s_and_saveexec_b32 s9, s8
	s_cbranch_execz .LBB60_36
; %bb.31:
	v_lshlrev_b32_e32 v2, 6, v0
	v_lshl_add_u32 v8, v0, 9, 0x4000
	s_delay_alu instid0(VALU_DEP_2) | instskip(SKIP_1) | instid1(SALU_CYCLE_1)
	v_lshlrev_b32_e32 v7, 3, v2
                                        ; implicit-def: $vgpr2_vgpr3
	s_and_saveexec_b32 s8, s7
	s_xor_b32 s8, exec_lo, s8
	s_cbranch_execz .LBB60_33
; %bb.32:
	s_delay_alu instid0(VALU_DEP_1)
	v_add_nc_u32_e32 v2, 0xf8, v7
	ds_load_b64 v[8:9], v8 offset:248
	ds_load_2addr_stride64_b64 v[10:13], v2 offset1:8
	v_add_nc_u32_e32 v2, 0x1f8, v7
	ds_load_2addr_stride64_b64 v[14:17], v2 offset0:23 offset1:24
	ds_load_b64 v[2:3], v7 offset:8440
	s_wait_dscnt 0x2
	v_mul_f32_e32 v22, v13, v13
	s_delay_alu instid0(VALU_DEP_1) | instskip(SKIP_2) | instid1(VALU_DEP_2)
	v_fmac_f32_e32 v22, v12, v12
	s_wait_dscnt 0x0
	v_pk_mul_f32 v[20:21], v[16:17], v[2:3] op_sel:[1,1] op_sel_hi:[1,0] neg_lo:[0,1]
	v_div_scale_f32 v23, null, v22, v22, 1.0
	v_div_scale_f32 v25, vcc_lo, 1.0, v22, 1.0
	s_delay_alu instid0(VALU_DEP_3) | instskip(NEXT) | instid1(VALU_DEP_3)
	v_pk_fma_f32 v[2:3], v[2:3], v[16:17], v[20:21] op_sel_hi:[1,0,1]
	v_rcp_f32_e32 v24, v23
	v_nop
	s_delay_alu instid0(TRANS32_DEP_1) | instskip(NEXT) | instid1(VALU_DEP_1)
	v_fma_f32 v18, -v23, v24, 1.0
	v_fmac_f32_e32 v24, v18, v24
	v_pk_mul_f32 v[18:19], v[14:15], v[10:11] op_sel:[1,1] op_sel_hi:[1,0] neg_lo:[0,1]
	s_delay_alu instid0(VALU_DEP_2) | instskip(NEXT) | instid1(VALU_DEP_2)
	v_mul_f32_e32 v26, v25, v24
	v_pk_fma_f32 v[10:11], v[10:11], v[14:15], v[18:19] op_sel_hi:[1,0,1]
	s_delay_alu instid0(VALU_DEP_2) | instskip(NEXT) | instid1(VALU_DEP_2)
	v_fma_f32 v27, -v23, v26, v25
	v_pk_add_f32 v[8:9], v[8:9], v[10:11] neg_lo:[0,1] neg_hi:[0,1]
	s_delay_alu instid0(VALU_DEP_2) | instskip(NEXT) | instid1(VALU_DEP_2)
	v_fmac_f32_e32 v26, v27, v24
	v_pk_add_f32 v[2:3], v[8:9], v[2:3] neg_lo:[0,1] neg_hi:[0,1]
	s_delay_alu instid0(VALU_DEP_2) | instskip(NEXT) | instid1(VALU_DEP_2)
	v_fma_f32 v10, -v23, v26, v25
	v_pk_mul_f32 v[8:9], v[12:13], v[2:3] op_sel:[1,1] op_sel_hi:[1,0] neg_hi:[0,1]
	s_delay_alu instid0(VALU_DEP_2) | instskip(NEXT) | instid1(VALU_DEP_2)
	v_div_fmas_f32 v10, v10, v24, v26
	v_pk_fma_f32 v[2:3], v[2:3], v[12:13], v[8:9] op_sel_hi:[1,0,1]
                                        ; implicit-def: $vgpr8
	s_delay_alu instid0(VALU_DEP_2) | instskip(NEXT) | instid1(VALU_DEP_1)
	v_div_fixup_f32 v10, v10, v22, 1.0
	v_pk_mul_f32 v[2:3], v[10:11], v[2:3] op_sel_hi:[0,1]
.LBB60_33:
	s_and_not1_saveexec_b32 s8, s8
	s_cbranch_execz .LBB60_35
; %bb.34:
	v_add_nc_u32_e32 v2, 0xf8, v7
	ds_load_2addr_stride64_b64 v[10:13], v2 offset0:8 offset1:16
	ds_load_b64 v[2:3], v7 offset:12792
	s_wait_dscnt 0x1
	v_mul_f32_e32 v16, v11, v11
	s_delay_alu instid0(VALU_DEP_1) | instskip(NEXT) | instid1(VALU_DEP_1)
	v_fmac_f32_e32 v16, v10, v10
	v_div_scale_f32 v17, null, v16, v16, 1.0
	v_div_scale_f32 v19, vcc_lo, 1.0, v16, 1.0
	s_delay_alu instid0(VALU_DEP_2) | instskip(SKIP_1) | instid1(TRANS32_DEP_1)
	v_rcp_f32_e32 v18, v17
	v_nop
	v_fma_f32 v9, -v17, v18, 1.0
	s_delay_alu instid0(VALU_DEP_1) | instskip(SKIP_4) | instid1(VALU_DEP_2)
	v_fmac_f32_e32 v18, v9, v18
	ds_load_b64 v[8:9], v8 offset:248
	s_wait_dscnt 0x1
	v_pk_mul_f32 v[14:15], v[2:3], v[12:13] op_sel:[1,1] op_sel_hi:[1,0] neg_lo:[0,1]
	v_mul_f32_e32 v20, v19, v18
	v_pk_fma_f32 v[2:3], v[12:13], v[2:3], v[14:15] op_sel_hi:[1,0,1]
	s_delay_alu instid0(VALU_DEP_2) | instskip(NEXT) | instid1(VALU_DEP_1)
	v_fma_f32 v21, -v17, v20, v19
	v_fmac_f32_e32 v20, v21, v18
	s_delay_alu instid0(VALU_DEP_1) | instskip(SKIP_2) | instid1(VALU_DEP_2)
	v_fma_f32 v12, -v17, v20, v19
	s_wait_dscnt 0x0
	v_pk_add_f32 v[2:3], v[8:9], v[2:3] neg_lo:[0,1] neg_hi:[0,1]
	v_div_fmas_f32 v12, v12, v18, v20
	s_delay_alu instid0(VALU_DEP_2) | instskip(NEXT) | instid1(VALU_DEP_2)
	v_pk_mul_f32 v[8:9], v[10:11], v[2:3] op_sel:[1,1] op_sel_hi:[1,0] neg_hi:[0,1]
	v_div_fixup_f32 v12, v12, v16, 1.0
	s_delay_alu instid0(VALU_DEP_2) | instskip(NEXT) | instid1(VALU_DEP_1)
	v_pk_fma_f32 v[2:3], v[2:3], v[10:11], v[8:9] op_sel_hi:[1,0,1]
	v_pk_mul_f32 v[2:3], v[12:13], v[2:3] op_sel_hi:[0,1]
.LBB60_35:
	s_or_b32 exec_lo, exec_lo, s8
	ds_store_b64 v7, v[2:3] offset:12536
.LBB60_36:
	s_or_b32 exec_lo, exec_lo, s9
	s_wait_dscnt 0x0
	s_barrier_signal -1
	s_barrier_wait -1
	s_and_saveexec_b32 s8, s6
	s_cbranch_execz .LBB60_42
; %bb.37:
	v_lshlrev_b32_e32 v2, 5, v0
	v_lshl_add_u32 v8, v0, 8, 0x4000
	s_delay_alu instid0(VALU_DEP_2) | instskip(SKIP_1) | instid1(SALU_CYCLE_1)
	v_lshlrev_b32_e32 v7, 3, v2
                                        ; implicit-def: $vgpr2_vgpr3
	s_and_saveexec_b32 s6, s7
	s_xor_b32 s6, exec_lo, s6
	s_cbranch_execz .LBB60_39
; %bb.38:
	s_delay_alu instid0(VALU_DEP_1)
	v_add_nc_u32_e32 v2, 0x78, v7
	ds_load_b64 v[8:9], v8 offset:120
	ds_load_2addr_stride64_b64 v[10:13], v2 offset1:8
	v_add_nc_u32_e32 v2, 0x2c00, v7
	ds_load_2addr_b64 v[14:17], v2 offset0:127 offset1:159
	ds_load_b64 v[2:3], v7 offset:8312
	s_wait_dscnt 0x2
	v_mul_f32_e32 v22, v13, v13
	s_delay_alu instid0(VALU_DEP_1) | instskip(SKIP_2) | instid1(VALU_DEP_2)
	v_fmac_f32_e32 v22, v12, v12
	s_wait_dscnt 0x0
	v_pk_mul_f32 v[20:21], v[16:17], v[2:3] op_sel:[1,1] op_sel_hi:[1,0] neg_lo:[0,1]
	v_div_scale_f32 v23, null, v22, v22, 1.0
	v_div_scale_f32 v25, vcc_lo, 1.0, v22, 1.0
	s_delay_alu instid0(VALU_DEP_3) | instskip(NEXT) | instid1(VALU_DEP_3)
	v_pk_fma_f32 v[2:3], v[2:3], v[16:17], v[20:21] op_sel_hi:[1,0,1]
	v_rcp_f32_e32 v24, v23
	v_nop
	s_delay_alu instid0(TRANS32_DEP_1) | instskip(NEXT) | instid1(VALU_DEP_1)
	v_fma_f32 v18, -v23, v24, 1.0
	v_fmac_f32_e32 v24, v18, v24
	v_pk_mul_f32 v[18:19], v[14:15], v[10:11] op_sel:[1,1] op_sel_hi:[1,0] neg_lo:[0,1]
	s_delay_alu instid0(VALU_DEP_2) | instskip(NEXT) | instid1(VALU_DEP_2)
	v_mul_f32_e32 v26, v25, v24
	v_pk_fma_f32 v[10:11], v[10:11], v[14:15], v[18:19] op_sel_hi:[1,0,1]
	s_delay_alu instid0(VALU_DEP_2) | instskip(NEXT) | instid1(VALU_DEP_2)
	v_fma_f32 v27, -v23, v26, v25
	v_pk_add_f32 v[8:9], v[8:9], v[10:11] neg_lo:[0,1] neg_hi:[0,1]
	s_delay_alu instid0(VALU_DEP_2) | instskip(NEXT) | instid1(VALU_DEP_2)
	v_fmac_f32_e32 v26, v27, v24
	v_pk_add_f32 v[2:3], v[8:9], v[2:3] neg_lo:[0,1] neg_hi:[0,1]
	s_delay_alu instid0(VALU_DEP_2) | instskip(NEXT) | instid1(VALU_DEP_2)
	v_fma_f32 v10, -v23, v26, v25
	v_pk_mul_f32 v[8:9], v[12:13], v[2:3] op_sel:[1,1] op_sel_hi:[1,0] neg_hi:[0,1]
	s_delay_alu instid0(VALU_DEP_2) | instskip(NEXT) | instid1(VALU_DEP_2)
	v_div_fmas_f32 v10, v10, v24, v26
	v_pk_fma_f32 v[2:3], v[2:3], v[12:13], v[8:9] op_sel_hi:[1,0,1]
                                        ; implicit-def: $vgpr8
	s_delay_alu instid0(VALU_DEP_2) | instskip(NEXT) | instid1(VALU_DEP_1)
	v_div_fixup_f32 v10, v10, v22, 1.0
	v_pk_mul_f32 v[2:3], v[10:11], v[2:3] op_sel_hi:[0,1]
.LBB60_39:
	s_and_not1_saveexec_b32 s6, s6
	s_cbranch_execz .LBB60_41
; %bb.40:
	v_add_nc_u32_e32 v2, 0x78, v7
	ds_load_2addr_stride64_b64 v[10:13], v2 offset0:8 offset1:16
	ds_load_b64 v[2:3], v7 offset:12536
	s_wait_dscnt 0x1
	v_mul_f32_e32 v16, v11, v11
	s_delay_alu instid0(VALU_DEP_1) | instskip(NEXT) | instid1(VALU_DEP_1)
	v_fmac_f32_e32 v16, v10, v10
	v_div_scale_f32 v17, null, v16, v16, 1.0
	v_div_scale_f32 v19, vcc_lo, 1.0, v16, 1.0
	s_delay_alu instid0(VALU_DEP_2) | instskip(SKIP_1) | instid1(TRANS32_DEP_1)
	v_rcp_f32_e32 v18, v17
	v_nop
	v_fma_f32 v9, -v17, v18, 1.0
	s_delay_alu instid0(VALU_DEP_1) | instskip(SKIP_4) | instid1(VALU_DEP_2)
	v_fmac_f32_e32 v18, v9, v18
	ds_load_b64 v[8:9], v8 offset:120
	s_wait_dscnt 0x1
	v_pk_mul_f32 v[14:15], v[2:3], v[12:13] op_sel:[1,1] op_sel_hi:[1,0] neg_lo:[0,1]
	v_mul_f32_e32 v20, v19, v18
	v_pk_fma_f32 v[2:3], v[12:13], v[2:3], v[14:15] op_sel_hi:[1,0,1]
	s_delay_alu instid0(VALU_DEP_2) | instskip(NEXT) | instid1(VALU_DEP_1)
	v_fma_f32 v21, -v17, v20, v19
	v_fmac_f32_e32 v20, v21, v18
	s_delay_alu instid0(VALU_DEP_1) | instskip(SKIP_2) | instid1(VALU_DEP_2)
	v_fma_f32 v12, -v17, v20, v19
	s_wait_dscnt 0x0
	v_pk_add_f32 v[2:3], v[8:9], v[2:3] neg_lo:[0,1] neg_hi:[0,1]
	v_div_fmas_f32 v12, v12, v18, v20
	s_delay_alu instid0(VALU_DEP_2) | instskip(NEXT) | instid1(VALU_DEP_2)
	v_pk_mul_f32 v[8:9], v[10:11], v[2:3] op_sel:[1,1] op_sel_hi:[1,0] neg_hi:[0,1]
	v_div_fixup_f32 v12, v12, v16, 1.0
	s_delay_alu instid0(VALU_DEP_2) | instskip(NEXT) | instid1(VALU_DEP_1)
	v_pk_fma_f32 v[2:3], v[2:3], v[10:11], v[8:9] op_sel_hi:[1,0,1]
	v_pk_mul_f32 v[2:3], v[12:13], v[2:3] op_sel_hi:[0,1]
.LBB60_41:
	s_or_b32 exec_lo, exec_lo, s6
	ds_store_b64 v7, v[2:3] offset:12408
.LBB60_42:
	s_or_b32 exec_lo, exec_lo, s8
	s_wait_dscnt 0x0
	s_barrier_signal -1
	s_barrier_wait -1
	s_and_saveexec_b32 s6, s5
	s_cbranch_execz .LBB60_48
; %bb.43:
	v_lshlrev_b32_e32 v2, 4, v0
	v_lshl_add_u32 v8, v0, 7, 0x4000
	s_delay_alu instid0(VALU_DEP_2) | instskip(SKIP_1) | instid1(SALU_CYCLE_1)
	v_lshlrev_b32_e32 v7, 3, v2
                                        ; implicit-def: $vgpr2_vgpr3
	s_and_saveexec_b32 s5, s7
	s_xor_b32 s5, exec_lo, s5
	s_cbranch_execz .LBB60_45
; %bb.44:
	s_delay_alu instid0(VALU_DEP_1)
	v_add_nc_u32_e32 v2, 56, v7
	ds_load_b64 v[8:9], v8 offset:56
	ds_load_2addr_stride64_b64 v[10:13], v2 offset1:8
	v_add_nc_u32_e32 v2, 0x2c00, v7
	ds_load_2addr_b64 v[14:17], v2 offset0:127 offset1:143
	ds_load_b64 v[2:3], v7 offset:8248
	s_wait_dscnt 0x2
	v_mul_f32_e32 v22, v13, v13
	s_delay_alu instid0(VALU_DEP_1) | instskip(SKIP_2) | instid1(VALU_DEP_2)
	v_fmac_f32_e32 v22, v12, v12
	s_wait_dscnt 0x0
	v_pk_mul_f32 v[20:21], v[16:17], v[2:3] op_sel:[1,1] op_sel_hi:[1,0] neg_lo:[0,1]
	v_div_scale_f32 v23, null, v22, v22, 1.0
	v_div_scale_f32 v25, vcc_lo, 1.0, v22, 1.0
	s_delay_alu instid0(VALU_DEP_3) | instskip(NEXT) | instid1(VALU_DEP_3)
	v_pk_fma_f32 v[2:3], v[2:3], v[16:17], v[20:21] op_sel_hi:[1,0,1]
	v_rcp_f32_e32 v24, v23
	v_nop
	s_delay_alu instid0(TRANS32_DEP_1) | instskip(NEXT) | instid1(VALU_DEP_1)
	v_fma_f32 v18, -v23, v24, 1.0
	v_fmac_f32_e32 v24, v18, v24
	v_pk_mul_f32 v[18:19], v[14:15], v[10:11] op_sel:[1,1] op_sel_hi:[1,0] neg_lo:[0,1]
	s_delay_alu instid0(VALU_DEP_2) | instskip(NEXT) | instid1(VALU_DEP_2)
	v_mul_f32_e32 v26, v25, v24
	v_pk_fma_f32 v[10:11], v[10:11], v[14:15], v[18:19] op_sel_hi:[1,0,1]
	s_delay_alu instid0(VALU_DEP_2) | instskip(NEXT) | instid1(VALU_DEP_2)
	v_fma_f32 v27, -v23, v26, v25
	v_pk_add_f32 v[8:9], v[8:9], v[10:11] neg_lo:[0,1] neg_hi:[0,1]
	s_delay_alu instid0(VALU_DEP_2) | instskip(NEXT) | instid1(VALU_DEP_2)
	v_fmac_f32_e32 v26, v27, v24
	v_pk_add_f32 v[2:3], v[8:9], v[2:3] neg_lo:[0,1] neg_hi:[0,1]
	s_delay_alu instid0(VALU_DEP_2) | instskip(NEXT) | instid1(VALU_DEP_2)
	v_fma_f32 v10, -v23, v26, v25
	v_pk_mul_f32 v[8:9], v[12:13], v[2:3] op_sel:[1,1] op_sel_hi:[1,0] neg_hi:[0,1]
	s_delay_alu instid0(VALU_DEP_2) | instskip(NEXT) | instid1(VALU_DEP_2)
	v_div_fmas_f32 v10, v10, v24, v26
	v_pk_fma_f32 v[2:3], v[2:3], v[12:13], v[8:9] op_sel_hi:[1,0,1]
                                        ; implicit-def: $vgpr8
	s_delay_alu instid0(VALU_DEP_2) | instskip(NEXT) | instid1(VALU_DEP_1)
	v_div_fixup_f32 v10, v10, v22, 1.0
	v_pk_mul_f32 v[2:3], v[10:11], v[2:3] op_sel_hi:[0,1]
.LBB60_45:
	s_and_not1_saveexec_b32 s5, s5
	s_cbranch_execz .LBB60_47
; %bb.46:
	v_add_nc_u32_e32 v2, 56, v7
	ds_load_2addr_stride64_b64 v[10:13], v2 offset0:8 offset1:16
	ds_load_b64 v[2:3], v7 offset:12408
	s_wait_dscnt 0x1
	v_mul_f32_e32 v16, v11, v11
	s_delay_alu instid0(VALU_DEP_1) | instskip(NEXT) | instid1(VALU_DEP_1)
	v_fmac_f32_e32 v16, v10, v10
	v_div_scale_f32 v17, null, v16, v16, 1.0
	v_div_scale_f32 v19, vcc_lo, 1.0, v16, 1.0
	s_delay_alu instid0(VALU_DEP_2) | instskip(SKIP_1) | instid1(TRANS32_DEP_1)
	v_rcp_f32_e32 v18, v17
	v_nop
	v_fma_f32 v9, -v17, v18, 1.0
	s_delay_alu instid0(VALU_DEP_1) | instskip(SKIP_4) | instid1(VALU_DEP_2)
	v_fmac_f32_e32 v18, v9, v18
	ds_load_b64 v[8:9], v8 offset:56
	s_wait_dscnt 0x1
	v_pk_mul_f32 v[14:15], v[2:3], v[12:13] op_sel:[1,1] op_sel_hi:[1,0] neg_lo:[0,1]
	v_mul_f32_e32 v20, v19, v18
	v_pk_fma_f32 v[2:3], v[12:13], v[2:3], v[14:15] op_sel_hi:[1,0,1]
	s_delay_alu instid0(VALU_DEP_2) | instskip(NEXT) | instid1(VALU_DEP_1)
	v_fma_f32 v21, -v17, v20, v19
	v_fmac_f32_e32 v20, v21, v18
	s_delay_alu instid0(VALU_DEP_1) | instskip(SKIP_2) | instid1(VALU_DEP_2)
	v_fma_f32 v12, -v17, v20, v19
	s_wait_dscnt 0x0
	v_pk_add_f32 v[2:3], v[8:9], v[2:3] neg_lo:[0,1] neg_hi:[0,1]
	v_div_fmas_f32 v12, v12, v18, v20
	s_delay_alu instid0(VALU_DEP_2) | instskip(NEXT) | instid1(VALU_DEP_2)
	v_pk_mul_f32 v[8:9], v[10:11], v[2:3] op_sel:[1,1] op_sel_hi:[1,0] neg_hi:[0,1]
	v_div_fixup_f32 v12, v12, v16, 1.0
	s_delay_alu instid0(VALU_DEP_2) | instskip(NEXT) | instid1(VALU_DEP_1)
	v_pk_fma_f32 v[2:3], v[2:3], v[10:11], v[8:9] op_sel_hi:[1,0,1]
	v_pk_mul_f32 v[2:3], v[12:13], v[2:3] op_sel_hi:[0,1]
.LBB60_47:
	s_or_b32 exec_lo, exec_lo, s5
	ds_store_b64 v7, v[2:3] offset:12344
.LBB60_48:
	s_or_b32 exec_lo, exec_lo, s6
	s_wait_dscnt 0x0
	s_barrier_signal -1
	s_barrier_wait -1
	s_and_saveexec_b32 s5, s4
	s_cbranch_execz .LBB60_54
; %bb.49:
	v_lshl_or_b32 v7, v0, 6, 0x4000
	v_lshlrev_b32_e32 v1, 3, v1
                                        ; implicit-def: $vgpr2_vgpr3
	s_and_saveexec_b32 s4, s7
	s_delay_alu instid0(SALU_CYCLE_1)
	s_xor_b32 s4, exec_lo, s4
	s_cbranch_execz .LBB60_51
; %bb.50:
	s_delay_alu instid0(VALU_DEP_1) | instskip(SKIP_4) | instid1(VALU_DEP_1)
	v_add_nc_u32_e32 v2, 24, v1
	ds_load_b64 v[16:17], v7 offset:24
	ds_load_2addr_stride64_b64 v[8:11], v2 offset1:8
	s_wait_dscnt 0x0
	v_mul_f32_e32 v22, v11, v11
	v_fmac_f32_e32 v22, v10, v10
	s_delay_alu instid0(VALU_DEP_1) | instskip(SKIP_1) | instid1(VALU_DEP_2)
	v_div_scale_f32 v23, null, v22, v22, 1.0
	v_div_scale_f32 v7, vcc_lo, 1.0, v22, 1.0
	v_rcp_f32_e32 v24, v23
	v_nop
	s_delay_alu instid0(TRANS32_DEP_1) | instskip(NEXT) | instid1(VALU_DEP_1)
	v_fma_f32 v18, -v23, v24, 1.0
	v_fmac_f32_e32 v24, v18, v24
	s_delay_alu instid0(VALU_DEP_1) | instskip(SKIP_3) | instid1(VALU_DEP_1)
	v_dual_mul_f32 v25, v7, v24 :: v_dual_add_nc_u32 v2, 0x2c00, v1
	ds_load_2addr_b64 v[12:15], v2 offset0:127 offset1:135
	ds_load_b64 v[2:3], v1 offset:8216
	v_fma_f32 v26, -v23, v25, v7
	v_fmac_f32_e32 v25, v26, v24
	s_delay_alu instid0(VALU_DEP_1) | instskip(NEXT) | instid1(VALU_DEP_1)
	v_fma_f32 v7, -v23, v25, v7
	v_div_fmas_f32 v7, v7, v24, v25
	s_wait_dscnt 0x1
	v_pk_mul_f32 v[18:19], v[12:13], v[8:9] op_sel:[1,1] op_sel_hi:[1,0] neg_lo:[0,1]
	s_wait_dscnt 0x0
	v_pk_mul_f32 v[20:21], v[14:15], v[2:3] op_sel:[1,1] op_sel_hi:[1,0] neg_lo:[0,1]
	s_delay_alu instid0(VALU_DEP_2) | instskip(NEXT) | instid1(VALU_DEP_2)
	v_pk_fma_f32 v[8:9], v[8:9], v[12:13], v[18:19] op_sel_hi:[1,0,1]
	v_pk_fma_f32 v[2:3], v[2:3], v[14:15], v[20:21] op_sel_hi:[1,0,1]
	v_div_fixup_f32 v12, v7, v22, 1.0
                                        ; implicit-def: $vgpr7
	s_delay_alu instid0(VALU_DEP_3) | instskip(NEXT) | instid1(VALU_DEP_1)
	v_pk_add_f32 v[8:9], v[16:17], v[8:9] neg_lo:[0,1] neg_hi:[0,1]
	v_pk_add_f32 v[2:3], v[8:9], v[2:3] neg_lo:[0,1] neg_hi:[0,1]
	s_delay_alu instid0(VALU_DEP_1) | instskip(NEXT) | instid1(VALU_DEP_1)
	v_pk_mul_f32 v[8:9], v[10:11], v[2:3] op_sel:[1,1] op_sel_hi:[1,0] neg_hi:[0,1]
	v_pk_fma_f32 v[2:3], v[2:3], v[10:11], v[8:9] op_sel_hi:[1,0,1]
	s_delay_alu instid0(VALU_DEP_1)
	v_pk_mul_f32 v[2:3], v[12:13], v[2:3] op_sel_hi:[0,1]
.LBB60_51:
	s_and_not1_saveexec_b32 s4, s4
	s_cbranch_execz .LBB60_53
; %bb.52:
	v_add_nc_u32_e32 v2, 24, v1
	ds_load_2addr_stride64_b64 v[8:11], v2 offset0:8 offset1:16
	ds_load_b64 v[2:3], v1 offset:12344
	s_wait_dscnt 0x1
	v_mul_f32_e32 v16, v9, v9
	s_delay_alu instid0(VALU_DEP_1) | instskip(NEXT) | instid1(VALU_DEP_1)
	v_fmac_f32_e32 v16, v8, v8
	v_div_scale_f32 v17, null, v16, v16, 1.0
	v_div_scale_f32 v19, vcc_lo, 1.0, v16, 1.0
	s_delay_alu instid0(VALU_DEP_2) | instskip(SKIP_1) | instid1(TRANS32_DEP_1)
	v_rcp_f32_e32 v18, v17
	v_nop
	v_fma_f32 v12, -v17, v18, 1.0
	s_delay_alu instid0(VALU_DEP_1) | instskip(SKIP_4) | instid1(VALU_DEP_2)
	v_fmac_f32_e32 v18, v12, v18
	ds_load_b64 v[12:13], v7 offset:24
	s_wait_dscnt 0x1
	v_pk_mul_f32 v[14:15], v[2:3], v[10:11] op_sel:[1,1] op_sel_hi:[1,0] neg_lo:[0,1]
	v_mul_f32_e32 v7, v19, v18
	v_pk_fma_f32 v[2:3], v[10:11], v[2:3], v[14:15] op_sel_hi:[1,0,1]
	s_delay_alu instid0(VALU_DEP_2) | instskip(NEXT) | instid1(VALU_DEP_1)
	v_fma_f32 v20, -v17, v7, v19
	v_fmac_f32_e32 v7, v20, v18
	s_delay_alu instid0(VALU_DEP_1) | instskip(SKIP_2) | instid1(VALU_DEP_2)
	v_fma_f32 v10, -v17, v7, v19
	s_wait_dscnt 0x0
	v_pk_add_f32 v[2:3], v[12:13], v[2:3] neg_lo:[0,1] neg_hi:[0,1]
	v_div_fmas_f32 v7, v10, v18, v7
	s_delay_alu instid0(VALU_DEP_2) | instskip(NEXT) | instid1(VALU_DEP_2)
	v_pk_mul_f32 v[10:11], v[8:9], v[2:3] op_sel:[1,1] op_sel_hi:[1,0] neg_hi:[0,1]
	v_div_fixup_f32 v12, v7, v16, 1.0
	s_delay_alu instid0(VALU_DEP_2) | instskip(NEXT) | instid1(VALU_DEP_1)
	v_pk_fma_f32 v[2:3], v[2:3], v[8:9], v[10:11] op_sel_hi:[1,0,1]
	v_pk_mul_f32 v[2:3], v[12:13], v[2:3] op_sel_hi:[0,1]
.LBB60_53:
	s_or_b32 exec_lo, exec_lo, s4
	ds_store_b64 v1, v[2:3] offset:12312
.LBB60_54:
	s_or_b32 exec_lo, exec_lo, s5
	s_wait_dscnt 0x0
	s_barrier_signal -1
	s_barrier_wait -1
	s_and_saveexec_b32 s4, s3
	s_cbranch_execz .LBB60_60
; %bb.55:
	v_lshlrev_b32_e32 v1, 2, v0
	v_lshl_or_b32 v7, v0, 5, 0x4000
                                        ; implicit-def: $vgpr2_vgpr3
	s_delay_alu instid0(VALU_DEP_2) | instskip(SKIP_1) | instid1(SALU_CYCLE_1)
	v_lshlrev_b32_e32 v1, 3, v1
	s_and_saveexec_b32 s3, s7
	s_xor_b32 s3, exec_lo, s3
	s_cbranch_execz .LBB60_57
; %bb.56:
	s_delay_alu instid0(VALU_DEP_1) | instskip(SKIP_4) | instid1(VALU_DEP_1)
	v_add_nc_u32_e32 v2, 8, v1
	ds_load_b64 v[16:17], v7 offset:8
	ds_load_2addr_stride64_b64 v[8:11], v2 offset1:8
	s_wait_dscnt 0x0
	v_mul_f32_e32 v22, v11, v11
	v_fmac_f32_e32 v22, v10, v10
	s_delay_alu instid0(VALU_DEP_1) | instskip(SKIP_1) | instid1(VALU_DEP_2)
	v_div_scale_f32 v23, null, v22, v22, 1.0
	v_div_scale_f32 v7, vcc_lo, 1.0, v22, 1.0
	v_rcp_f32_e32 v24, v23
	v_nop
	s_delay_alu instid0(TRANS32_DEP_1) | instskip(NEXT) | instid1(VALU_DEP_1)
	v_fma_f32 v18, -v23, v24, 1.0
	v_fmac_f32_e32 v24, v18, v24
	s_delay_alu instid0(VALU_DEP_1) | instskip(SKIP_3) | instid1(VALU_DEP_1)
	v_dual_mul_f32 v25, v7, v24 :: v_dual_add_nc_u32 v2, 0x2c00, v1
	ds_load_2addr_b64 v[12:15], v2 offset0:127 offset1:131
	ds_load_b64 v[2:3], v1 offset:8200
	v_fma_f32 v26, -v23, v25, v7
	v_fmac_f32_e32 v25, v26, v24
	s_delay_alu instid0(VALU_DEP_1) | instskip(NEXT) | instid1(VALU_DEP_1)
	v_fma_f32 v7, -v23, v25, v7
	v_div_fmas_f32 v7, v7, v24, v25
	s_wait_dscnt 0x1
	v_pk_mul_f32 v[18:19], v[12:13], v[8:9] op_sel:[1,1] op_sel_hi:[1,0] neg_lo:[0,1]
	s_wait_dscnt 0x0
	v_pk_mul_f32 v[20:21], v[14:15], v[2:3] op_sel:[1,1] op_sel_hi:[1,0] neg_lo:[0,1]
	s_delay_alu instid0(VALU_DEP_2) | instskip(NEXT) | instid1(VALU_DEP_2)
	v_pk_fma_f32 v[8:9], v[8:9], v[12:13], v[18:19] op_sel_hi:[1,0,1]
	v_pk_fma_f32 v[2:3], v[2:3], v[14:15], v[20:21] op_sel_hi:[1,0,1]
	v_div_fixup_f32 v12, v7, v22, 1.0
                                        ; implicit-def: $vgpr7
	s_delay_alu instid0(VALU_DEP_3) | instskip(NEXT) | instid1(VALU_DEP_1)
	v_pk_add_f32 v[8:9], v[16:17], v[8:9] neg_lo:[0,1] neg_hi:[0,1]
	v_pk_add_f32 v[2:3], v[8:9], v[2:3] neg_lo:[0,1] neg_hi:[0,1]
	s_delay_alu instid0(VALU_DEP_1) | instskip(NEXT) | instid1(VALU_DEP_1)
	v_pk_mul_f32 v[8:9], v[10:11], v[2:3] op_sel:[1,1] op_sel_hi:[1,0] neg_hi:[0,1]
	v_pk_fma_f32 v[2:3], v[2:3], v[10:11], v[8:9] op_sel_hi:[1,0,1]
	s_delay_alu instid0(VALU_DEP_1)
	v_pk_mul_f32 v[2:3], v[12:13], v[2:3] op_sel_hi:[0,1]
.LBB60_57:
	s_and_not1_saveexec_b32 s3, s3
	s_cbranch_execz .LBB60_59
; %bb.58:
	v_add_nc_u32_e32 v2, 8, v1
	ds_load_2addr_stride64_b64 v[8:11], v2 offset0:8 offset1:16
	ds_load_b64 v[2:3], v1 offset:12312
	s_wait_dscnt 0x1
	v_mul_f32_e32 v16, v9, v9
	s_delay_alu instid0(VALU_DEP_1) | instskip(NEXT) | instid1(VALU_DEP_1)
	v_fmac_f32_e32 v16, v8, v8
	v_div_scale_f32 v17, null, v16, v16, 1.0
	v_div_scale_f32 v19, vcc_lo, 1.0, v16, 1.0
	s_delay_alu instid0(VALU_DEP_2) | instskip(SKIP_1) | instid1(TRANS32_DEP_1)
	v_rcp_f32_e32 v18, v17
	v_nop
	v_fma_f32 v12, -v17, v18, 1.0
	s_delay_alu instid0(VALU_DEP_1) | instskip(SKIP_4) | instid1(VALU_DEP_2)
	v_fmac_f32_e32 v18, v12, v18
	ds_load_b64 v[12:13], v7 offset:8
	s_wait_dscnt 0x1
	v_pk_mul_f32 v[14:15], v[2:3], v[10:11] op_sel:[1,1] op_sel_hi:[1,0] neg_lo:[0,1]
	v_mul_f32_e32 v7, v19, v18
	v_pk_fma_f32 v[2:3], v[10:11], v[2:3], v[14:15] op_sel_hi:[1,0,1]
	s_delay_alu instid0(VALU_DEP_2) | instskip(NEXT) | instid1(VALU_DEP_1)
	v_fma_f32 v20, -v17, v7, v19
	v_fmac_f32_e32 v7, v20, v18
	s_delay_alu instid0(VALU_DEP_1) | instskip(SKIP_2) | instid1(VALU_DEP_2)
	v_fma_f32 v10, -v17, v7, v19
	s_wait_dscnt 0x0
	v_pk_add_f32 v[2:3], v[12:13], v[2:3] neg_lo:[0,1] neg_hi:[0,1]
	v_div_fmas_f32 v7, v10, v18, v7
	s_delay_alu instid0(VALU_DEP_2) | instskip(NEXT) | instid1(VALU_DEP_2)
	v_pk_mul_f32 v[10:11], v[8:9], v[2:3] op_sel:[1,1] op_sel_hi:[1,0] neg_hi:[0,1]
	v_div_fixup_f32 v12, v7, v16, 1.0
	s_delay_alu instid0(VALU_DEP_2) | instskip(NEXT) | instid1(VALU_DEP_1)
	v_pk_fma_f32 v[2:3], v[2:3], v[8:9], v[10:11] op_sel_hi:[1,0,1]
	v_pk_mul_f32 v[2:3], v[12:13], v[2:3] op_sel_hi:[0,1]
.LBB60_59:
	s_or_b32 exec_lo, exec_lo, s3
	ds_store_b64 v1, v[2:3] offset:12296
.LBB60_60:
	s_or_b32 exec_lo, exec_lo, s4
	s_wait_dscnt 0x0
	s_barrier_signal -1
	s_barrier_wait -1
	s_and_saveexec_b32 s3, s2
	s_cbranch_execz .LBB60_66
; %bb.61:
	v_lshlrev_b32_e32 v1, 1, v0
	v_lshl_or_b32 v3, v0, 4, 0x4000
	s_delay_alu instid0(VALU_DEP_2) | instskip(SKIP_1) | instid1(SALU_CYCLE_1)
	v_lshlrev_b32_e32 v2, 3, v1
                                        ; implicit-def: $vgpr0_vgpr1
	s_and_saveexec_b32 s2, s7
	s_xor_b32 s2, exec_lo, s2
	s_cbranch_execz .LBB60_63
; %bb.62:
	ds_load_2addr_stride64_b64 v[8:11], v2 offset1:8
	v_add_nc_u32_e32 v0, 0x2c00, v2
	ds_load_b64 v[16:17], v3
	ds_load_2addr_b64 v[12:15], v0 offset0:127 offset1:129
	ds_load_b64 v[0:1], v2 offset:8192
	s_wait_dscnt 0x3
	v_mul_f32_e32 v7, v11, v11
	s_delay_alu instid0(VALU_DEP_1) | instskip(SKIP_2) | instid1(VALU_DEP_2)
	v_fmac_f32_e32 v7, v10, v10
	s_wait_dscnt 0x0
	v_pk_mul_f32 v[20:21], v[14:15], v[0:1] op_sel:[1,1] op_sel_hi:[1,0] neg_lo:[0,1]
	v_div_scale_f32 v22, null, v7, v7, 1.0
	v_div_scale_f32 v3, vcc_lo, 1.0, v7, 1.0
	s_delay_alu instid0(VALU_DEP_3) | instskip(NEXT) | instid1(VALU_DEP_3)
	v_pk_fma_f32 v[0:1], v[0:1], v[14:15], v[20:21] op_sel_hi:[1,0,1]
	v_rcp_f32_e32 v23, v22
	v_nop
	s_delay_alu instid0(TRANS32_DEP_1) | instskip(NEXT) | instid1(VALU_DEP_1)
	v_fma_f32 v18, -v22, v23, 1.0
	v_fmac_f32_e32 v23, v18, v23
	v_pk_mul_f32 v[18:19], v[12:13], v[8:9] op_sel:[1,1] op_sel_hi:[1,0] neg_lo:[0,1]
	s_delay_alu instid0(VALU_DEP_2) | instskip(NEXT) | instid1(VALU_DEP_2)
	v_mul_f32_e32 v24, v3, v23
	v_pk_fma_f32 v[8:9], v[8:9], v[12:13], v[18:19] op_sel_hi:[1,0,1]
	s_delay_alu instid0(VALU_DEP_2) | instskip(NEXT) | instid1(VALU_DEP_2)
	v_fma_f32 v25, -v22, v24, v3
	v_pk_add_f32 v[8:9], v[16:17], v[8:9] neg_lo:[0,1] neg_hi:[0,1]
	s_delay_alu instid0(VALU_DEP_2) | instskip(NEXT) | instid1(VALU_DEP_2)
	v_fmac_f32_e32 v24, v25, v23
	v_pk_add_f32 v[0:1], v[8:9], v[0:1] neg_lo:[0,1] neg_hi:[0,1]
	s_delay_alu instid0(VALU_DEP_2) | instskip(NEXT) | instid1(VALU_DEP_2)
	v_fma_f32 v3, -v22, v24, v3
	v_pk_mul_f32 v[8:9], v[10:11], v[0:1] op_sel:[1,1] op_sel_hi:[1,0] neg_hi:[0,1]
	s_delay_alu instid0(VALU_DEP_2) | instskip(NEXT) | instid1(VALU_DEP_2)
	v_div_fmas_f32 v3, v3, v23, v24
	v_pk_fma_f32 v[0:1], v[0:1], v[10:11], v[8:9] op_sel_hi:[1,0,1]
	s_delay_alu instid0(VALU_DEP_2) | instskip(NEXT) | instid1(VALU_DEP_1)
	v_div_fixup_f32 v12, v3, v7, 1.0
                                        ; implicit-def: $vgpr3
	v_pk_mul_f32 v[0:1], v[12:13], v[0:1] op_sel_hi:[0,1]
.LBB60_63:
	s_and_not1_saveexec_b32 s2, s2
	s_cbranch_execz .LBB60_65
; %bb.64:
	ds_load_2addr_stride64_b64 v[8:11], v2 offset0:8 offset1:16
	ds_load_b64 v[0:1], v2 offset:12296
	s_wait_dscnt 0x1
	v_mul_f32_e32 v7, v9, v9
	s_delay_alu instid0(VALU_DEP_1) | instskip(NEXT) | instid1(VALU_DEP_1)
	v_fmac_f32_e32 v7, v8, v8
	v_div_scale_f32 v16, null, v7, v7, 1.0
	v_div_scale_f32 v18, vcc_lo, 1.0, v7, 1.0
	s_delay_alu instid0(VALU_DEP_2) | instskip(SKIP_1) | instid1(TRANS32_DEP_1)
	v_rcp_f32_e32 v17, v16
	v_nop
	v_fma_f32 v12, -v16, v17, 1.0
	s_delay_alu instid0(VALU_DEP_1) | instskip(SKIP_4) | instid1(VALU_DEP_2)
	v_fmac_f32_e32 v17, v12, v17
	ds_load_b64 v[12:13], v3
	s_wait_dscnt 0x1
	v_pk_mul_f32 v[14:15], v[0:1], v[10:11] op_sel:[1,1] op_sel_hi:[1,0] neg_lo:[0,1]
	v_mul_f32_e32 v3, v18, v17
	v_pk_fma_f32 v[0:1], v[10:11], v[0:1], v[14:15] op_sel_hi:[1,0,1]
	s_delay_alu instid0(VALU_DEP_2) | instskip(NEXT) | instid1(VALU_DEP_1)
	v_fma_f32 v19, -v16, v3, v18
	v_fmac_f32_e32 v3, v19, v17
	s_delay_alu instid0(VALU_DEP_1) | instskip(SKIP_2) | instid1(VALU_DEP_2)
	v_fma_f32 v10, -v16, v3, v18
	s_wait_dscnt 0x0
	v_pk_add_f32 v[0:1], v[12:13], v[0:1] neg_lo:[0,1] neg_hi:[0,1]
	v_div_fmas_f32 v3, v10, v17, v3
	s_delay_alu instid0(VALU_DEP_2) | instskip(NEXT) | instid1(VALU_DEP_2)
	v_pk_mul_f32 v[10:11], v[8:9], v[0:1] op_sel:[1,1] op_sel_hi:[1,0] neg_hi:[0,1]
	v_div_fixup_f32 v12, v3, v7, 1.0
	s_delay_alu instid0(VALU_DEP_2) | instskip(NEXT) | instid1(VALU_DEP_1)
	v_pk_fma_f32 v[0:1], v[0:1], v[8:9], v[10:11] op_sel_hi:[1,0,1]
	v_pk_mul_f32 v[0:1], v[12:13], v[0:1] op_sel_hi:[0,1]
.LBB60_65:
	s_or_b32 exec_lo, exec_lo, s2
	ds_store_b64 v2, v[0:1] offset:12288
.LBB60_66:
	s_or_b32 exec_lo, exec_lo, s3
	s_wait_xcnt 0x0
	s_load_b32 s0, s[0:1], 0x8
	s_wait_dscnt 0x0
	s_barrier_signal -1
	s_barrier_wait -1
	ds_load_2addr_stride64_b64 v[0:3], v6 offset1:4
	s_wait_kmcnt 0x0
	s_mul_i32 s0, s0, s11
	s_delay_alu instid0(SALU_CYCLE_1)
	v_dual_add_nc_u32 v4, s0, v4 :: v_dual_add_nc_u32 v5, s0, v5
	s_wait_dscnt 0x0
	s_clause 0x1
	global_store_b64 v4, v[0:1], s[12:13] scale_offset
	global_store_b64 v5, v[2:3], s[12:13] scale_offset
	s_endpgm
	.section	.rodata,"a",@progbits
	.p2align	6, 0x0
	.amdhsa_kernel _ZN9rocsparseL48gtsv_nopivot_strided_batch_cr_pow2_stage2_kernelILj256E21rocsparse_complex_numIfEEEviiiPKT0_S5_S5_S5_PS3_
		.amdhsa_group_segment_fixed_size 20480
		.amdhsa_private_segment_fixed_size 0
		.amdhsa_kernarg_size 312
		.amdhsa_user_sgpr_count 2
		.amdhsa_user_sgpr_dispatch_ptr 0
		.amdhsa_user_sgpr_queue_ptr 0
		.amdhsa_user_sgpr_kernarg_segment_ptr 1
		.amdhsa_user_sgpr_dispatch_id 0
		.amdhsa_user_sgpr_kernarg_preload_length 0
		.amdhsa_user_sgpr_kernarg_preload_offset 0
		.amdhsa_user_sgpr_private_segment_size 0
		.amdhsa_wavefront_size32 1
		.amdhsa_uses_dynamic_stack 0
		.amdhsa_enable_private_segment 0
		.amdhsa_system_sgpr_workgroup_id_x 1
		.amdhsa_system_sgpr_workgroup_id_y 1
		.amdhsa_system_sgpr_workgroup_id_z 0
		.amdhsa_system_sgpr_workgroup_info 0
		.amdhsa_system_vgpr_workitem_id 0
		.amdhsa_next_free_vgpr 43
		.amdhsa_next_free_sgpr 20
		.amdhsa_named_barrier_count 0
		.amdhsa_reserve_vcc 1
		.amdhsa_float_round_mode_32 0
		.amdhsa_float_round_mode_16_64 0
		.amdhsa_float_denorm_mode_32 3
		.amdhsa_float_denorm_mode_16_64 3
		.amdhsa_fp16_overflow 0
		.amdhsa_memory_ordered 1
		.amdhsa_forward_progress 1
		.amdhsa_inst_pref_size 79
		.amdhsa_round_robin_scheduling 0
		.amdhsa_exception_fp_ieee_invalid_op 0
		.amdhsa_exception_fp_denorm_src 0
		.amdhsa_exception_fp_ieee_div_zero 0
		.amdhsa_exception_fp_ieee_overflow 0
		.amdhsa_exception_fp_ieee_underflow 0
		.amdhsa_exception_fp_ieee_inexact 0
		.amdhsa_exception_int_div_zero 0
	.end_amdhsa_kernel
	.section	.text._ZN9rocsparseL48gtsv_nopivot_strided_batch_cr_pow2_stage2_kernelILj256E21rocsparse_complex_numIfEEEviiiPKT0_S5_S5_S5_PS3_,"axG",@progbits,_ZN9rocsparseL48gtsv_nopivot_strided_batch_cr_pow2_stage2_kernelILj256E21rocsparse_complex_numIfEEEviiiPKT0_S5_S5_S5_PS3_,comdat
.Lfunc_end60:
	.size	_ZN9rocsparseL48gtsv_nopivot_strided_batch_cr_pow2_stage2_kernelILj256E21rocsparse_complex_numIfEEEviiiPKT0_S5_S5_S5_PS3_, .Lfunc_end60-_ZN9rocsparseL48gtsv_nopivot_strided_batch_cr_pow2_stage2_kernelILj256E21rocsparse_complex_numIfEEEviiiPKT0_S5_S5_S5_PS3_
                                        ; -- End function
	.set _ZN9rocsparseL48gtsv_nopivot_strided_batch_cr_pow2_stage2_kernelILj256E21rocsparse_complex_numIfEEEviiiPKT0_S5_S5_S5_PS3_.num_vgpr, 43
	.set _ZN9rocsparseL48gtsv_nopivot_strided_batch_cr_pow2_stage2_kernelILj256E21rocsparse_complex_numIfEEEviiiPKT0_S5_S5_S5_PS3_.num_agpr, 0
	.set _ZN9rocsparseL48gtsv_nopivot_strided_batch_cr_pow2_stage2_kernelILj256E21rocsparse_complex_numIfEEEviiiPKT0_S5_S5_S5_PS3_.numbered_sgpr, 20
	.set _ZN9rocsparseL48gtsv_nopivot_strided_batch_cr_pow2_stage2_kernelILj256E21rocsparse_complex_numIfEEEviiiPKT0_S5_S5_S5_PS3_.num_named_barrier, 0
	.set _ZN9rocsparseL48gtsv_nopivot_strided_batch_cr_pow2_stage2_kernelILj256E21rocsparse_complex_numIfEEEviiiPKT0_S5_S5_S5_PS3_.private_seg_size, 0
	.set _ZN9rocsparseL48gtsv_nopivot_strided_batch_cr_pow2_stage2_kernelILj256E21rocsparse_complex_numIfEEEviiiPKT0_S5_S5_S5_PS3_.uses_vcc, 1
	.set _ZN9rocsparseL48gtsv_nopivot_strided_batch_cr_pow2_stage2_kernelILj256E21rocsparse_complex_numIfEEEviiiPKT0_S5_S5_S5_PS3_.uses_flat_scratch, 0
	.set _ZN9rocsparseL48gtsv_nopivot_strided_batch_cr_pow2_stage2_kernelILj256E21rocsparse_complex_numIfEEEviiiPKT0_S5_S5_S5_PS3_.has_dyn_sized_stack, 0
	.set _ZN9rocsparseL48gtsv_nopivot_strided_batch_cr_pow2_stage2_kernelILj256E21rocsparse_complex_numIfEEEviiiPKT0_S5_S5_S5_PS3_.has_recursion, 0
	.set _ZN9rocsparseL48gtsv_nopivot_strided_batch_cr_pow2_stage2_kernelILj256E21rocsparse_complex_numIfEEEviiiPKT0_S5_S5_S5_PS3_.has_indirect_call, 0
	.section	.AMDGPU.csdata,"",@progbits
; Kernel info:
; codeLenInByte = 9992
; TotalNumSgprs: 22
; NumVgprs: 43
; ScratchSize: 0
; MemoryBound: 0
; FloatMode: 240
; IeeeMode: 1
; LDSByteSize: 20480 bytes/workgroup (compile time only)
; SGPRBlocks: 0
; VGPRBlocks: 2
; NumSGPRsForWavesPerEU: 22
; NumVGPRsForWavesPerEU: 43
; NamedBarCnt: 0
; Occupancy: 16
; WaveLimiterHint : 0
; COMPUTE_PGM_RSRC2:SCRATCH_EN: 0
; COMPUTE_PGM_RSRC2:USER_SGPR: 2
; COMPUTE_PGM_RSRC2:TRAP_HANDLER: 0
; COMPUTE_PGM_RSRC2:TGID_X_EN: 1
; COMPUTE_PGM_RSRC2:TGID_Y_EN: 1
; COMPUTE_PGM_RSRC2:TGID_Z_EN: 0
; COMPUTE_PGM_RSRC2:TIDIG_COMP_CNT: 0
	.section	.text._ZN9rocsparseL44gtsv_nopivot_strided_batch_pcr_stage1_kernelILj256E21rocsparse_complex_numIfEEEviiiiPKT0_S5_S5_S5_PS3_S6_S6_S6_,"axG",@progbits,_ZN9rocsparseL44gtsv_nopivot_strided_batch_pcr_stage1_kernelILj256E21rocsparse_complex_numIfEEEviiiiPKT0_S5_S5_S5_PS3_S6_S6_S6_,comdat
	.globl	_ZN9rocsparseL44gtsv_nopivot_strided_batch_pcr_stage1_kernelILj256E21rocsparse_complex_numIfEEEviiiiPKT0_S5_S5_S5_PS3_S6_S6_S6_ ; -- Begin function _ZN9rocsparseL44gtsv_nopivot_strided_batch_pcr_stage1_kernelILj256E21rocsparse_complex_numIfEEEviiiiPKT0_S5_S5_S5_PS3_S6_S6_S6_
	.p2align	8
	.type	_ZN9rocsparseL44gtsv_nopivot_strided_batch_pcr_stage1_kernelILj256E21rocsparse_complex_numIfEEEviiiiPKT0_S5_S5_S5_PS3_S6_S6_S6_,@function
_ZN9rocsparseL44gtsv_nopivot_strided_batch_pcr_stage1_kernelILj256E21rocsparse_complex_numIfEEEviiiiPKT0_S5_S5_S5_PS3_S6_S6_S6_: ; @_ZN9rocsparseL44gtsv_nopivot_strided_batch_pcr_stage1_kernelILj256E21rocsparse_complex_numIfEEEviiiiPKT0_S5_S5_S5_PS3_S6_S6_S6_
; %bb.0:
	s_load_b64 s[2:3], s[0:1], 0x0
	s_bfe_u32 s4, ttmp6, 0x4000c
	s_and_b32 s5, ttmp6, 15
	s_add_co_i32 s4, s4, 1
	s_getreg_b32 s12, hwreg(HW_REG_IB_STS2, 6, 4)
	s_mul_i32 s4, ttmp9, s4
	s_delay_alu instid0(SALU_CYCLE_1) | instskip(SKIP_2) | instid1(SALU_CYCLE_1)
	s_add_co_i32 s5, s5, s4
	s_cmp_eq_u32 s12, 0
	s_cselect_b32 s4, ttmp9, s5
	v_lshl_or_b32 v0, s4, 8, v0
	s_mov_b32 s4, exec_lo
	s_wait_kmcnt 0x0
	s_delay_alu instid0(VALU_DEP_1)
	v_cmpx_gt_i32_e64 s3, v0
	s_cbranch_execz .LBB61_2
; %bb.1:
	s_clause 0x1
	s_load_b32 s13, s[0:1], 0xc
	s_load_b256 s[4:11], s[0:1], 0x10
	s_bfe_u32 s14, ttmp6, 0x40010
	s_bfe_u32 s15, ttmp6, 0x40004
	s_add_co_i32 s14, s14, 1
	v_subrev_nc_u32_e32 v1, s2, v0
	s_mul_i32 s14, ttmp7, s14
	s_delay_alu instid0(SALU_CYCLE_1) | instskip(SKIP_1) | instid1(VALU_DEP_1)
	s_add_co_i32 s15, s15, s14
	s_cmp_eq_u32 s12, 0
	v_max_i32_e32 v1, 0, v1
	s_cselect_b32 s14, ttmp7, s15
	s_add_co_i32 s15, s3, -1
	s_delay_alu instid0(SALU_CYCLE_1) | instskip(SKIP_2) | instid1(SALU_CYCLE_1)
	v_add_min_i32_e64 v26, v0, s2, s15
	s_wait_kmcnt 0x0
	s_mul_i32 s12, s13, s14
	s_ashr_i32 s13, s12, 31
	s_delay_alu instid0(SALU_CYCLE_1) | instskip(NEXT) | instid1(SALU_CYCLE_1)
	s_lshl_b64 s[12:13], s[12:13], 3
	s_add_nc_u64 s[6:7], s[6:7], s[12:13]
	s_add_nc_u64 s[4:5], s[4:5], s[12:13]
	s_clause 0x1
	global_load_b64 v[2:3], v1, s[6:7] scale_offset
	global_load_b64 v[4:5], v26, s[6:7] scale_offset
	s_add_nc_u64 s[8:9], s[8:9], s[12:13]
	s_clause 0x1
	global_load_b64 v[6:7], v0, s[4:5] scale_offset
	global_load_b64 v[8:9], v0, s[8:9] scale_offset
	;; [unrolled: 4-line block ×3, first 2 shown]
	s_clause 0x4
	global_load_b64 v[14:15], v26, s[8:9] scale_offset
	global_load_b64 v[16:17], v26, s[4:5] scale_offset
	;; [unrolled: 1-line block ×6, first 2 shown]
	s_wait_xcnt 0x0
	s_load_b256 s[4:11], s[0:1], 0x30
	s_mul_i32 s12, s3, s14
	s_delay_alu instid0(SALU_CYCLE_1) | instskip(SKIP_4) | instid1(VALU_DEP_1)
	s_ashr_i32 s13, s12, 31
	s_wait_xcnt 0x0
	s_lshl_b64 s[0:1], s[12:13], 3
	s_wait_loadcnt 0xa
	v_dual_mul_f32 v1, v3, v3 :: v_dual_mul_f32 v26, v5, v5
	v_dual_fmac_f32 v1, v2, v2 :: v_dual_fmac_f32 v26, v4, v4
	s_delay_alu instid0(VALU_DEP_1) | instskip(NEXT) | instid1(VALU_DEP_2)
	v_div_scale_f32 v27, null, v1, v1, 1.0
	v_div_scale_f32 v28, null, v26, v26, 1.0
	v_div_scale_f32 v33, vcc_lo, 1.0, v1, 1.0
	s_delay_alu instid0(VALU_DEP_3) | instskip(NEXT) | instid1(VALU_DEP_2)
	v_rcp_f32_e32 v29, v27
	v_rcp_f32_e32 v30, v28
	s_delay_alu instid0(TRANS32_DEP_2) | instskip(NEXT) | instid1(TRANS32_DEP_1)
	v_fma_f32 v31, -v27, v29, 1.0
	v_fma_f32 v32, -v28, v30, 1.0
	s_delay_alu instid0(VALU_DEP_1) | instskip(SKIP_1) | instid1(VALU_DEP_1)
	v_dual_fmac_f32 v29, v31, v29 :: v_dual_fmac_f32 v30, v32, v30
	v_div_scale_f32 v31, s2, 1.0, v26, 1.0
	v_dual_mul_f32 v32, v33, v29 :: v_dual_mul_f32 v34, v31, v30
	s_delay_alu instid0(VALU_DEP_1) | instskip(NEXT) | instid1(VALU_DEP_1)
	v_fma_f32 v35, -v27, v32, v33
	v_fmac_f32_e32 v32, v35, v29
	s_wait_loadcnt 0x9
	v_dual_mul_f32 v35, v3, v7 :: v_dual_mul_f32 v3, v3, -v6
	s_delay_alu instid0(VALU_DEP_2) | instskip(SKIP_2) | instid1(VALU_DEP_3)
	v_fma_f32 v27, -v27, v32, v33
	s_wait_loadcnt 0x8
	v_dual_mul_f32 v33, v5, -v8 :: v_dual_fma_f32 v36, -v28, v34, v31
	v_dual_fmac_f32 v3, v7, v2 :: v_dual_mul_f32 v5, v5, v9
	s_delay_alu instid0(VALU_DEP_2) | instskip(NEXT) | instid1(VALU_DEP_3)
	v_dual_fmac_f32 v35, v6, v2 :: v_dual_fmac_f32 v33, v9, v4
	v_fmac_f32_e32 v34, v36, v30
	s_delay_alu instid0(VALU_DEP_3) | instskip(NEXT) | instid1(VALU_DEP_2)
	v_fmac_f32_e32 v5, v8, v4
	v_fma_f32 v28, -v28, v34, v31
	v_div_fmas_f32 v27, v27, v29, v32
	s_mov_b32 vcc_lo, s2
	s_wait_kmcnt 0x0
	s_add_nc_u64 s[2:3], s[4:5], s[0:1]
	s_add_nc_u64 s[4:5], s[6:7], s[0:1]
	v_div_fmas_f32 v28, v28, v30, v34
	v_div_fixup_f32 v1, v27, v1, 1.0
	s_add_nc_u64 s[6:7], s[8:9], s[0:1]
	s_add_nc_u64 s[0:1], s[10:11], s[0:1]
	s_delay_alu instid0(VALU_DEP_2) | instskip(NEXT) | instid1(VALU_DEP_2)
	v_div_fixup_f32 v7, v28, v26, 1.0
	v_dual_mul_f32 v2, v3, v1 :: v_dual_mul_f32 v6, v1, v35
	s_delay_alu instid0(VALU_DEP_2) | instskip(SKIP_1) | instid1(VALU_DEP_2)
	v_dual_mul_f32 v4, v33, v7 :: v_dual_mul_f32 v28, v7, v5
	s_wait_loadcnt 0x7
	v_pk_mul_f32 v[8:9], v[2:3], v[10:11] op_sel:[0,1] op_sel_hi:[0,0] neg_lo:[0,1]
	s_wait_loadcnt 0x6
	v_pk_mul_f32 v[26:27], v[2:3], v[12:13] op_sel:[0,1] op_sel_hi:[0,0] neg_lo:[0,1]
	s_wait_loadcnt 0x0
	v_pk_mul_f32 v[2:3], v[2:3], v[24:25] op_sel:[0,1] op_sel_hi:[0,0] neg_hi:[0,1]
	v_pk_mul_f32 v[30:31], v[4:5], v[16:17] op_sel:[0,1] op_sel_hi:[0,0] neg_lo:[0,1]
	v_pk_mul_f32 v[32:33], v[4:5], v[18:19] op_sel:[0,1] op_sel_hi:[0,0] neg_lo:[0,1]
	v_pk_fma_f32 v[8:9], v[10:11], v[6:7], v[8:9] op_sel_hi:[1,0,1]
	v_pk_fma_f32 v[10:11], v[12:13], v[6:7], v[26:27] op_sel_hi:[1,0,1]
	v_pk_mul_f32 v[4:5], v[4:5], v[14:15] op_sel:[0,1] op_sel_hi:[0,0] neg_hi:[0,1]
	v_pk_fma_f32 v[12:13], v[16:17], v[28:29], v[30:31] op_sel_hi:[1,0,1]
	v_pk_fma_f32 v[16:17], v[18:19], v[28:29], v[32:33] op_sel_hi:[1,0,1]
	v_pk_add_f32 v[8:9], v[22:23], v[8:9] neg_lo:[0,1] neg_hi:[0,1]
	v_pk_add_f32 v[10:11], v[20:21], v[10:11] neg_lo:[0,1] neg_hi:[0,1]
	v_pk_fma_f32 v[2:3], v[24:25], v[6:7], v[2:3] op_sel_hi:[1,0,1] neg_lo:[1,0,0] neg_hi:[1,0,0]
	v_pk_fma_f32 v[4:5], v[14:15], v[28:29], v[4:5] op_sel_hi:[1,0,1] neg_lo:[1,0,0] neg_hi:[1,0,0]
	s_delay_alu instid0(VALU_DEP_4) | instskip(NEXT) | instid1(VALU_DEP_4)
	v_pk_add_f32 v[8:9], v[8:9], v[12:13] neg_lo:[0,1] neg_hi:[0,1]
	v_pk_add_f32 v[10:11], v[10:11], v[16:17] neg_lo:[0,1] neg_hi:[0,1]
	s_clause 0x3
	global_store_b64 v0, v[8:9], s[4:5] scale_offset
	global_store_b64 v0, v[10:11], s[0:1] scale_offset
	;; [unrolled: 1-line block ×4, first 2 shown]
.LBB61_2:
	s_endpgm
	.section	.rodata,"a",@progbits
	.p2align	6, 0x0
	.amdhsa_kernel _ZN9rocsparseL44gtsv_nopivot_strided_batch_pcr_stage1_kernelILj256E21rocsparse_complex_numIfEEEviiiiPKT0_S5_S5_S5_PS3_S6_S6_S6_
		.amdhsa_group_segment_fixed_size 0
		.amdhsa_private_segment_fixed_size 0
		.amdhsa_kernarg_size 80
		.amdhsa_user_sgpr_count 2
		.amdhsa_user_sgpr_dispatch_ptr 0
		.amdhsa_user_sgpr_queue_ptr 0
		.amdhsa_user_sgpr_kernarg_segment_ptr 1
		.amdhsa_user_sgpr_dispatch_id 0
		.amdhsa_user_sgpr_kernarg_preload_length 0
		.amdhsa_user_sgpr_kernarg_preload_offset 0
		.amdhsa_user_sgpr_private_segment_size 0
		.amdhsa_wavefront_size32 1
		.amdhsa_uses_dynamic_stack 0
		.amdhsa_enable_private_segment 0
		.amdhsa_system_sgpr_workgroup_id_x 1
		.amdhsa_system_sgpr_workgroup_id_y 1
		.amdhsa_system_sgpr_workgroup_id_z 0
		.amdhsa_system_sgpr_workgroup_info 0
		.amdhsa_system_vgpr_workitem_id 0
		.amdhsa_next_free_vgpr 37
		.amdhsa_next_free_sgpr 16
		.amdhsa_named_barrier_count 0
		.amdhsa_reserve_vcc 1
		.amdhsa_float_round_mode_32 0
		.amdhsa_float_round_mode_16_64 0
		.amdhsa_float_denorm_mode_32 3
		.amdhsa_float_denorm_mode_16_64 3
		.amdhsa_fp16_overflow 0
		.amdhsa_memory_ordered 1
		.amdhsa_forward_progress 1
		.amdhsa_inst_pref_size 8
		.amdhsa_round_robin_scheduling 0
		.amdhsa_exception_fp_ieee_invalid_op 0
		.amdhsa_exception_fp_denorm_src 0
		.amdhsa_exception_fp_ieee_div_zero 0
		.amdhsa_exception_fp_ieee_overflow 0
		.amdhsa_exception_fp_ieee_underflow 0
		.amdhsa_exception_fp_ieee_inexact 0
		.amdhsa_exception_int_div_zero 0
	.end_amdhsa_kernel
	.section	.text._ZN9rocsparseL44gtsv_nopivot_strided_batch_pcr_stage1_kernelILj256E21rocsparse_complex_numIfEEEviiiiPKT0_S5_S5_S5_PS3_S6_S6_S6_,"axG",@progbits,_ZN9rocsparseL44gtsv_nopivot_strided_batch_pcr_stage1_kernelILj256E21rocsparse_complex_numIfEEEviiiiPKT0_S5_S5_S5_PS3_S6_S6_S6_,comdat
.Lfunc_end61:
	.size	_ZN9rocsparseL44gtsv_nopivot_strided_batch_pcr_stage1_kernelILj256E21rocsparse_complex_numIfEEEviiiiPKT0_S5_S5_S5_PS3_S6_S6_S6_, .Lfunc_end61-_ZN9rocsparseL44gtsv_nopivot_strided_batch_pcr_stage1_kernelILj256E21rocsparse_complex_numIfEEEviiiiPKT0_S5_S5_S5_PS3_S6_S6_S6_
                                        ; -- End function
	.set _ZN9rocsparseL44gtsv_nopivot_strided_batch_pcr_stage1_kernelILj256E21rocsparse_complex_numIfEEEviiiiPKT0_S5_S5_S5_PS3_S6_S6_S6_.num_vgpr, 37
	.set _ZN9rocsparseL44gtsv_nopivot_strided_batch_pcr_stage1_kernelILj256E21rocsparse_complex_numIfEEEviiiiPKT0_S5_S5_S5_PS3_S6_S6_S6_.num_agpr, 0
	.set _ZN9rocsparseL44gtsv_nopivot_strided_batch_pcr_stage1_kernelILj256E21rocsparse_complex_numIfEEEviiiiPKT0_S5_S5_S5_PS3_S6_S6_S6_.numbered_sgpr, 16
	.set _ZN9rocsparseL44gtsv_nopivot_strided_batch_pcr_stage1_kernelILj256E21rocsparse_complex_numIfEEEviiiiPKT0_S5_S5_S5_PS3_S6_S6_S6_.num_named_barrier, 0
	.set _ZN9rocsparseL44gtsv_nopivot_strided_batch_pcr_stage1_kernelILj256E21rocsparse_complex_numIfEEEviiiiPKT0_S5_S5_S5_PS3_S6_S6_S6_.private_seg_size, 0
	.set _ZN9rocsparseL44gtsv_nopivot_strided_batch_pcr_stage1_kernelILj256E21rocsparse_complex_numIfEEEviiiiPKT0_S5_S5_S5_PS3_S6_S6_S6_.uses_vcc, 1
	.set _ZN9rocsparseL44gtsv_nopivot_strided_batch_pcr_stage1_kernelILj256E21rocsparse_complex_numIfEEEviiiiPKT0_S5_S5_S5_PS3_S6_S6_S6_.uses_flat_scratch, 0
	.set _ZN9rocsparseL44gtsv_nopivot_strided_batch_pcr_stage1_kernelILj256E21rocsparse_complex_numIfEEEviiiiPKT0_S5_S5_S5_PS3_S6_S6_S6_.has_dyn_sized_stack, 0
	.set _ZN9rocsparseL44gtsv_nopivot_strided_batch_pcr_stage1_kernelILj256E21rocsparse_complex_numIfEEEviiiiPKT0_S5_S5_S5_PS3_S6_S6_S6_.has_recursion, 0
	.set _ZN9rocsparseL44gtsv_nopivot_strided_batch_pcr_stage1_kernelILj256E21rocsparse_complex_numIfEEEviiiiPKT0_S5_S5_S5_PS3_S6_S6_S6_.has_indirect_call, 0
	.section	.AMDGPU.csdata,"",@progbits
; Kernel info:
; codeLenInByte = 900
; TotalNumSgprs: 18
; NumVgprs: 37
; ScratchSize: 0
; MemoryBound: 0
; FloatMode: 240
; IeeeMode: 1
; LDSByteSize: 0 bytes/workgroup (compile time only)
; SGPRBlocks: 0
; VGPRBlocks: 2
; NumSGPRsForWavesPerEU: 18
; NumVGPRsForWavesPerEU: 37
; NamedBarCnt: 0
; Occupancy: 16
; WaveLimiterHint : 0
; COMPUTE_PGM_RSRC2:SCRATCH_EN: 0
; COMPUTE_PGM_RSRC2:USER_SGPR: 2
; COMPUTE_PGM_RSRC2:TRAP_HANDLER: 0
; COMPUTE_PGM_RSRC2:TGID_X_EN: 1
; COMPUTE_PGM_RSRC2:TGID_Y_EN: 1
; COMPUTE_PGM_RSRC2:TGID_Z_EN: 0
; COMPUTE_PGM_RSRC2:TIDIG_COMP_CNT: 0
	.section	.text._ZN9rocsparseL44gtsv_nopivot_strided_batch_pcr_stage2_kernelILj512E21rocsparse_complex_numIfEEEviiiPKT0_S5_S5_S5_PS3_,"axG",@progbits,_ZN9rocsparseL44gtsv_nopivot_strided_batch_pcr_stage2_kernelILj512E21rocsparse_complex_numIfEEEviiiPKT0_S5_S5_S5_PS3_,comdat
	.globl	_ZN9rocsparseL44gtsv_nopivot_strided_batch_pcr_stage2_kernelILj512E21rocsparse_complex_numIfEEEviiiPKT0_S5_S5_S5_PS3_ ; -- Begin function _ZN9rocsparseL44gtsv_nopivot_strided_batch_pcr_stage2_kernelILj512E21rocsparse_complex_numIfEEEviiiPKT0_S5_S5_S5_PS3_
	.p2align	8
	.type	_ZN9rocsparseL44gtsv_nopivot_strided_batch_pcr_stage2_kernelILj512E21rocsparse_complex_numIfEEEviiiPKT0_S5_S5_S5_PS3_,@function
_ZN9rocsparseL44gtsv_nopivot_strided_batch_pcr_stage2_kernelILj512E21rocsparse_complex_numIfEEEviiiPKT0_S5_S5_S5_PS3_: ; @_ZN9rocsparseL44gtsv_nopivot_strided_batch_pcr_stage2_kernelILj512E21rocsparse_complex_numIfEEEviiiPKT0_S5_S5_S5_PS3_
; %bb.0:
	s_clause 0x1
	s_load_b32 s2, s[0:1], 0x38
	s_load_b32 s16, s[0:1], 0x0
	s_bfe_u32 s4, ttmp6, 0x4000c
	s_bfe_u32 s5, ttmp6, 0x40010
	s_add_co_i32 s4, s4, 1
	s_add_co_i32 s5, s5, 1
	s_and_b32 s3, ttmp6, 15
	s_bfe_u32 s6, ttmp6, 0x40004
	s_mul_i32 s4, ttmp9, s4
	s_mul_i32 s5, ttmp7, s5
	s_getreg_b32 s7, hwreg(HW_REG_IB_STS2, 6, 4)
	s_add_co_i32 s3, s3, s4
	s_add_co_i32 s6, s6, s5
	s_cmp_eq_u32 s7, 0
	s_load_b256 s[8:15], s[0:1], 0x10
	s_cselect_b32 s3, ttmp9, s3
	s_cselect_b32 s4, ttmp7, s6
	v_min_u32_e32 v3, 0x1fe, v0
	v_min_u32_e32 v20, 0x1fd, v0
	s_wait_kmcnt 0x0
	v_mad_u32 v1, s2, v0, s3
	s_mul_i32 s5, s16, s4
	s_add_co_i32 s3, s16, s3
	v_lshlrev_b32_e32 v3, 3, v3
	s_add_co_i32 s3, s3, s5
	s_delay_alu instid0(SALU_CYCLE_1) | instskip(NEXT) | instid1(VALU_DEP_1)
	s_sub_co_i32 s3, s3, s2
	v_dual_add_nc_u32 v3, 8, v3 :: v_dual_add_nc_u32 v2, s5, v1
	v_cmp_gt_i32_e64 s2, s16, v1
	s_delay_alu instid0(VALU_DEP_1)
	v_cndmask_b32_e64 v2, s3, v2, s2
	s_clause 0x3
	global_load_b64 v[4:5], v2, s[8:9] scale_offset
	global_load_b64 v[6:7], v2, s[10:11] scale_offset
	;; [unrolled: 1-line block ×4, first 2 shown]
	s_wait_xcnt 0x0
	v_max_i32_e32 v2, 1, v0
	s_delay_alu instid0(VALU_DEP_1)
	v_dual_lshlrev_b32 v24, 3, v2 :: v_dual_lshlrev_b32 v2, 3, v0
	s_wait_loadcnt 0x2
	ds_store_2addr_stride64_b64 v2, v[4:5], v[6:7] offset1:8
	s_wait_loadcnt 0x0
	ds_store_2addr_stride64_b64 v2, v[8:9], v[10:11] offset0:16 offset1:32
	v_add_nc_u32_e32 v12, 0x1f8, v24
	s_wait_dscnt 0x0
	s_barrier_signal -1
	s_barrier_wait -1
	ds_load_2addr_stride64_b64 v[4:7], v12 offset0:7 offset1:15
	ds_load_2addr_stride64_b64 v[8:11], v3 offset1:8
	ds_load_2addr_stride64_b64 v[12:15], v2 offset1:8
	ds_load_2addr_stride64_b64 v[16:19], v2 offset0:16 offset1:32
	s_wait_dscnt 0x2
	v_dual_mul_f32 v28, v5, v5 :: v_dual_mul_f32 v29, v11, v11
	s_delay_alu instid0(VALU_DEP_1) | instskip(NEXT) | instid1(VALU_DEP_1)
	v_dual_fmac_f32 v28, v4, v4 :: v_dual_fmac_f32 v29, v10, v10
	v_div_scale_f32 v30, null, v28, v28, 1.0
	s_delay_alu instid0(VALU_DEP_2) | instskip(SKIP_1) | instid1(VALU_DEP_3)
	v_div_scale_f32 v31, null, v29, v29, 1.0
	v_div_scale_f32 v34, vcc_lo, 1.0, v28, 1.0
	v_rcp_f32_e32 v32, v30
	s_delay_alu instid0(VALU_DEP_2) | instskip(SKIP_1) | instid1(TRANS32_DEP_2)
	v_rcp_f32_e32 v33, v31
	v_div_scale_f32 v35, s3, 1.0, v29, 1.0
	v_fma_f32 v22, -v30, v32, 1.0
	s_delay_alu instid0(TRANS32_DEP_1) | instskip(NEXT) | instid1(VALU_DEP_1)
	v_fma_f32 v23, -v31, v33, 1.0
	v_dual_fmac_f32 v33, v23, v33 :: v_dual_max_i32 v21, 2, v0
	s_delay_alu instid0(VALU_DEP_1) | instskip(NEXT) | instid1(VALU_DEP_1)
	v_dual_fmac_f32 v32, v22, v32 :: v_dual_lshlrev_b32 v36, 3, v21
	v_dual_mul_f32 v39, v35, v33 :: v_dual_mul_f32 v37, v34, v32
	v_lshlrev_b32_e32 v38, 3, v20
	v_add_nc_u32_e32 v26, -8, v24
	ds_load_2addr_stride64_b64 v[20:23], v3 offset0:16 offset1:32
	v_dual_fma_f32 v3, -v31, v39, v35 :: v_dual_fma_f32 v41, -v30, v37, v34
	ds_load_b64 v[24:25], v24 offset:16376
	ds_load_b64 v[26:27], v26
	v_add_nc_u32_e32 v40, 0x1f0, v36
	s_wait_dscnt 0x0
	v_dual_fmac_f32 v39, v3, v33 :: v_dual_fmac_f32 v37, v41, v32
	v_dual_mul_f32 v41, v5, v13 :: v_dual_mul_f32 v3, v5, -v12
	v_dual_mul_f32 v5, v11, v17 :: v_dual_mul_f32 v11, v11, -v16
	s_delay_alu instid0(VALU_DEP_3) | instskip(NEXT) | instid1(VALU_DEP_3)
	v_dual_fma_f32 v30, -v30, v37, v34 :: v_dual_fma_f32 v31, -v31, v39, v35
	v_dual_fmac_f32 v41, v12, v4 :: v_dual_fmac_f32 v3, v13, v4
	s_delay_alu instid0(VALU_DEP_3) | instskip(NEXT) | instid1(VALU_DEP_3)
	v_fmac_f32_e32 v5, v16, v10
	v_div_fmas_f32 v30, v30, v32, v37
	s_mov_b32 vcc_lo, s3
	s_barrier_signal -1
	v_div_fmas_f32 v31, v31, v33, v39
	s_barrier_wait -1
	v_div_fixup_f32 v13, v30, v28, 1.0
	v_fmac_f32_e32 v11, v17, v10
	s_delay_alu instid0(VALU_DEP_3) | instskip(NEXT) | instid1(VALU_DEP_3)
	v_div_fixup_f32 v17, v31, v29, 1.0
	v_dual_mul_f32 v4, v3, v13 :: v_dual_add_nc_u32 v3, 16, v38
	v_mul_f32_e32 v10, v13, v41
	s_delay_alu instid0(VALU_DEP_3) | instskip(SKIP_1) | instid1(VALU_DEP_4)
	v_mul_f32_e32 v12, v11, v17
	v_mul_f32_e32 v16, v17, v5
	v_pk_mul_f32 v[28:29], v[4:5], v[6:7] op_sel:[0,1] op_sel_hi:[0,0] neg_lo:[0,1]
	v_pk_mul_f32 v[30:31], v[4:5], v[24:25] op_sel:[0,1] op_sel_hi:[0,0] neg_lo:[0,1]
	v_pk_mul_f32 v[4:5], v[4:5], v[26:27] op_sel:[0,1] op_sel_hi:[0,0] neg_hi:[0,1]
	v_pk_mul_f32 v[32:33], v[12:13], v[8:9] op_sel:[0,1] op_sel_hi:[0,0] neg_lo:[0,1]
	v_pk_mul_f32 v[34:35], v[12:13], v[22:23] op_sel:[0,1] op_sel_hi:[0,0] neg_lo:[0,1]
	v_pk_fma_f32 v[6:7], v[6:7], v[10:11], v[28:29] op_sel_hi:[1,0,1]
	v_pk_fma_f32 v[24:25], v[24:25], v[10:11], v[30:31] op_sel_hi:[1,0,1]
	v_pk_mul_f32 v[12:13], v[12:13], v[20:21] op_sel:[0,1] op_sel_hi:[0,0] neg_hi:[0,1]
	v_pk_fma_f32 v[8:9], v[8:9], v[16:17], v[32:33] op_sel_hi:[1,0,1]
	v_pk_fma_f32 v[22:23], v[22:23], v[16:17], v[34:35] op_sel_hi:[1,0,1]
	v_pk_add_f32 v[6:7], v[14:15], v[6:7] neg_lo:[0,1] neg_hi:[0,1]
	v_pk_add_f32 v[14:15], v[18:19], v[24:25] neg_lo:[0,1] neg_hi:[0,1]
	v_pk_fma_f32 v[4:5], v[26:27], v[10:11], v[4:5] op_sel_hi:[1,0,1] neg_lo:[1,0,0] neg_hi:[1,0,0]
	v_pk_fma_f32 v[10:11], v[20:21], v[16:17], v[12:13] op_sel_hi:[1,0,1] neg_lo:[1,0,0] neg_hi:[1,0,0]
	v_min_u32_e32 v20, 0x1fb, v0
	v_pk_add_f32 v[6:7], v[6:7], v[8:9] neg_lo:[0,1] neg_hi:[0,1]
	v_pk_add_f32 v[8:9], v[14:15], v[22:23] neg_lo:[0,1] neg_hi:[0,1]
	ds_store_2addr_stride64_b64 v2, v[4:5], v[6:7] offset1:8
	ds_store_2addr_stride64_b64 v2, v[10:11], v[8:9] offset0:16 offset1:32
	s_wait_dscnt 0x0
	s_barrier_signal -1
	s_barrier_wait -1
	ds_load_2addr_stride64_b64 v[4:7], v40 offset0:7 offset1:15
	ds_load_2addr_stride64_b64 v[8:11], v3 offset1:8
	ds_load_2addr_stride64_b64 v[12:15], v2 offset1:8
	ds_load_2addr_stride64_b64 v[16:19], v2 offset0:16 offset1:32
	s_wait_dscnt 0x2
	v_dual_mul_f32 v29, v11, v11 :: v_dual_add_nc_u32 v26, -16, v36
	s_delay_alu instid0(VALU_DEP_1) | instskip(NEXT) | instid1(VALU_DEP_1)
	v_dual_mul_f32 v28, v5, v5 :: v_dual_fmac_f32 v29, v10, v10
	v_fmac_f32_e32 v28, v4, v4
	s_delay_alu instid0(VALU_DEP_2) | instskip(NEXT) | instid1(VALU_DEP_2)
	v_div_scale_f32 v31, null, v29, v29, 1.0
	v_div_scale_f32 v30, null, v28, v28, 1.0
	v_div_scale_f32 v34, vcc_lo, 1.0, v28, 1.0
	s_delay_alu instid0(VALU_DEP_3) | instskip(NEXT) | instid1(VALU_DEP_2)
	v_rcp_f32_e32 v33, v31
	v_rcp_f32_e32 v32, v30
	v_div_scale_f32 v35, s3, 1.0, v29, 1.0
	s_delay_alu instid0(TRANS32_DEP_2) | instskip(NEXT) | instid1(TRANS32_DEP_1)
	v_fma_f32 v23, -v31, v33, 1.0
	v_fma_f32 v22, -v30, v32, 1.0
	s_delay_alu instid0(VALU_DEP_2) | instskip(NEXT) | instid1(VALU_DEP_1)
	v_dual_fmac_f32 v33, v23, v33 :: v_dual_max_i32 v21, 4, v0
	v_dual_fmac_f32 v32, v22, v32 :: v_dual_lshlrev_b32 v37, 3, v21
	s_delay_alu instid0(VALU_DEP_1)
	v_dual_mul_f32 v40, v35, v33 :: v_dual_mul_f32 v38, v34, v32
	v_lshlrev_b32_e32 v39, 3, v20
	ds_load_2addr_stride64_b64 v[20:23], v3 offset0:16 offset1:32
	ds_load_b64 v[24:25], v36 offset:16368
	ds_load_b64 v[26:27], v26
	s_wait_dscnt 0x4
	v_dual_mul_f32 v36, v5, v13 :: v_dual_fma_f32 v42, -v30, v38, v34
	v_add_nc_u32_e32 v41, 0x1e0, v37
	s_wait_dscnt 0x0
	s_barrier_signal -1
	s_delay_alu instid0(VALU_DEP_2) | instskip(SKIP_3) | instid1(VALU_DEP_1)
	v_fmac_f32_e32 v36, v12, v4
	v_fmac_f32_e32 v38, v42, v32
	v_fma_f32 v3, -v31, v40, v35
	s_barrier_wait -1
	v_dual_fma_f32 v30, -v30, v38, v34 :: v_dual_fmac_f32 v40, v3, v33
	v_dual_mul_f32 v3, v5, -v12 :: v_dual_mul_f32 v5, v11, v17
	v_mul_f32_e64 v11, v11, -v16
	s_delay_alu instid0(VALU_DEP_3) | instskip(NEXT) | instid1(VALU_DEP_4)
	v_div_fmas_f32 v30, v30, v32, v38
	v_fma_f32 v31, -v31, v40, v35
	s_mov_b32 vcc_lo, s3
	v_dual_fmac_f32 v3, v13, v4 :: v_dual_fmac_f32 v5, v16, v10
	s_delay_alu instid0(VALU_DEP_3) | instskip(NEXT) | instid1(VALU_DEP_3)
	v_div_fixup_f32 v13, v30, v28, 1.0
	v_div_fmas_f32 v31, v31, v33, v40
	s_delay_alu instid0(VALU_DEP_2) | instskip(NEXT) | instid1(VALU_DEP_2)
	v_dual_fmac_f32 v11, v17, v10 :: v_dual_mul_f32 v4, v3, v13
	v_div_fixup_f32 v17, v31, v29, 1.0
	v_dual_mul_f32 v10, v13, v36 :: v_dual_add_nc_u32 v3, 32, v39
	s_delay_alu instid0(VALU_DEP_3) | instskip(NEXT) | instid1(VALU_DEP_3)
	v_pk_mul_f32 v[28:29], v[4:5], v[6:7] op_sel:[0,1] op_sel_hi:[0,0] neg_lo:[0,1]
	v_mul_f32_e32 v12, v11, v17
	v_pk_mul_f32 v[30:31], v[4:5], v[24:25] op_sel:[0,1] op_sel_hi:[0,0] neg_lo:[0,1]
	v_mul_f32_e32 v16, v17, v5
	v_pk_mul_f32 v[4:5], v[4:5], v[26:27] op_sel:[0,1] op_sel_hi:[0,0] neg_hi:[0,1]
	v_pk_fma_f32 v[6:7], v[6:7], v[10:11], v[28:29] op_sel_hi:[1,0,1]
	v_pk_mul_f32 v[32:33], v[12:13], v[8:9] op_sel:[0,1] op_sel_hi:[0,0] neg_lo:[0,1]
	v_pk_mul_f32 v[34:35], v[12:13], v[22:23] op_sel:[0,1] op_sel_hi:[0,0] neg_lo:[0,1]
	v_pk_fma_f32 v[24:25], v[24:25], v[10:11], v[30:31] op_sel_hi:[1,0,1]
	v_pk_mul_f32 v[12:13], v[12:13], v[20:21] op_sel:[0,1] op_sel_hi:[0,0] neg_hi:[0,1]
	v_pk_add_f32 v[6:7], v[14:15], v[6:7] neg_lo:[0,1] neg_hi:[0,1]
	v_pk_fma_f32 v[8:9], v[8:9], v[16:17], v[32:33] op_sel_hi:[1,0,1]
	v_pk_fma_f32 v[22:23], v[22:23], v[16:17], v[34:35] op_sel_hi:[1,0,1]
	v_pk_add_f32 v[14:15], v[18:19], v[24:25] neg_lo:[0,1] neg_hi:[0,1]
	v_pk_fma_f32 v[4:5], v[26:27], v[10:11], v[4:5] op_sel_hi:[1,0,1] neg_lo:[1,0,0] neg_hi:[1,0,0]
	v_pk_fma_f32 v[10:11], v[20:21], v[16:17], v[12:13] op_sel_hi:[1,0,1] neg_lo:[1,0,0] neg_hi:[1,0,0]
	v_pk_add_f32 v[6:7], v[6:7], v[8:9] neg_lo:[0,1] neg_hi:[0,1]
	v_min_u32_e32 v20, 0x1f7, v0
	v_pk_add_f32 v[8:9], v[14:15], v[22:23] neg_lo:[0,1] neg_hi:[0,1]
	ds_store_2addr_stride64_b64 v2, v[4:5], v[6:7] offset1:8
	ds_store_2addr_stride64_b64 v2, v[10:11], v[8:9] offset0:16 offset1:32
	s_wait_dscnt 0x0
	s_barrier_signal -1
	s_barrier_wait -1
	ds_load_2addr_stride64_b64 v[4:7], v41 offset0:7 offset1:15
	ds_load_2addr_stride64_b64 v[8:11], v3 offset1:8
	ds_load_2addr_stride64_b64 v[12:15], v2 offset1:8
	ds_load_2addr_stride64_b64 v[16:19], v2 offset0:16 offset1:32
	v_subrev_nc_u32_e32 v26, 32, v37
	s_wait_dscnt 0x2
	v_dual_mul_f32 v29, v11, v11 :: v_dual_mul_f32 v28, v5, v5
	s_delay_alu instid0(VALU_DEP_1) | instskip(NEXT) | instid1(VALU_DEP_1)
	v_dual_fmac_f32 v29, v10, v10 :: v_dual_fmac_f32 v28, v4, v4
	v_div_scale_f32 v31, null, v29, v29, 1.0
	s_delay_alu instid0(VALU_DEP_2) | instskip(SKIP_1) | instid1(VALU_DEP_3)
	v_div_scale_f32 v30, null, v28, v28, 1.0
	v_div_scale_f32 v34, vcc_lo, 1.0, v28, 1.0
	v_rcp_f32_e32 v33, v31
	s_delay_alu instid0(VALU_DEP_2) | instskip(SKIP_1) | instid1(TRANS32_DEP_2)
	v_rcp_f32_e32 v32, v30
	v_div_scale_f32 v35, s3, 1.0, v29, 1.0
	v_fma_f32 v23, -v31, v33, 1.0
	s_delay_alu instid0(TRANS32_DEP_1) | instskip(NEXT) | instid1(VALU_DEP_2)
	v_fma_f32 v22, -v30, v32, 1.0
	v_dual_fmac_f32 v33, v23, v33 :: v_dual_max_i32 v21, 8, v0
	s_delay_alu instid0(VALU_DEP_1) | instskip(NEXT) | instid1(VALU_DEP_1)
	v_dual_fmac_f32 v32, v22, v32 :: v_dual_lshlrev_b32 v36, 3, v21
	v_dual_mul_f32 v40, v35, v33 :: v_dual_mul_f32 v38, v34, v32
	v_lshlrev_b32_e32 v39, 3, v20
	ds_load_2addr_stride64_b64 v[20:23], v3 offset0:16 offset1:32
	ds_load_b64 v[24:25], v37 offset:16352
	ds_load_b64 v[26:27], v26
	s_wait_dscnt 0x4
	v_dual_fma_f32 v3, -v31, v40, v35 :: v_dual_mul_f32 v37, v5, v13
	v_fma_f32 v42, -v30, v38, v34
	v_add_nc_u32_e32 v41, 0x1c0, v36
	s_wait_dscnt 0x0
	s_delay_alu instid0(VALU_DEP_3) | instskip(NEXT) | instid1(VALU_DEP_3)
	v_dual_fmac_f32 v40, v3, v33 :: v_dual_fmac_f32 v37, v12, v4
	v_fmac_f32_e32 v38, v42, v32
	v_dual_mul_f32 v3, v5, -v12 :: v_dual_mul_f32 v5, v11, v17
	v_mul_f32_e64 v11, v11, -v16
	s_delay_alu instid0(VALU_DEP_3) | instskip(NEXT) | instid1(VALU_DEP_3)
	v_dual_fma_f32 v31, -v31, v40, v35 :: v_dual_fma_f32 v30, -v30, v38, v34
	v_dual_fmac_f32 v3, v13, v4 :: v_dual_fmac_f32 v5, v16, v10
	s_barrier_signal -1
	s_barrier_wait -1
	s_delay_alu instid0(VALU_DEP_2) | instskip(SKIP_1) | instid1(VALU_DEP_1)
	v_div_fmas_f32 v30, v30, v32, v38
	s_mov_b32 vcc_lo, s3
	v_div_fixup_f32 v13, v30, v28, 1.0
	s_delay_alu instid0(VALU_DEP_1) | instskip(SKIP_3) | instid1(VALU_DEP_2)
	v_dual_fmac_f32 v11, v17, v10 :: v_dual_mul_f32 v4, v3, v13
	v_add_nc_u32_e32 v3, 64, v39
	v_div_fmas_f32 v31, v31, v33, v40
	v_mul_f32_e32 v10, v13, v37
	v_div_fixup_f32 v17, v31, v29, 1.0
	v_pk_mul_f32 v[28:29], v[4:5], v[6:7] op_sel:[0,1] op_sel_hi:[0,0] neg_lo:[0,1]
	v_pk_mul_f32 v[30:31], v[4:5], v[24:25] op_sel:[0,1] op_sel_hi:[0,0] neg_lo:[0,1]
	s_delay_alu instid0(VALU_DEP_3) | instskip(SKIP_1) | instid1(VALU_DEP_4)
	v_mul_f32_e32 v12, v11, v17
	v_mul_f32_e32 v16, v17, v5
	v_pk_fma_f32 v[6:7], v[6:7], v[10:11], v[28:29] op_sel_hi:[1,0,1]
	s_delay_alu instid0(VALU_DEP_4)
	v_pk_fma_f32 v[24:25], v[24:25], v[10:11], v[30:31] op_sel_hi:[1,0,1]
	v_pk_mul_f32 v[4:5], v[4:5], v[26:27] op_sel:[0,1] op_sel_hi:[0,0] neg_hi:[0,1]
	v_pk_mul_f32 v[32:33], v[12:13], v[8:9] op_sel:[0,1] op_sel_hi:[0,0] neg_lo:[0,1]
	v_pk_mul_f32 v[34:35], v[12:13], v[22:23] op_sel:[0,1] op_sel_hi:[0,0] neg_lo:[0,1]
	v_pk_add_f32 v[6:7], v[14:15], v[6:7] neg_lo:[0,1] neg_hi:[0,1]
	v_pk_mul_f32 v[12:13], v[12:13], v[20:21] op_sel:[0,1] op_sel_hi:[0,0] neg_hi:[0,1]
	v_pk_add_f32 v[14:15], v[18:19], v[24:25] neg_lo:[0,1] neg_hi:[0,1]
	v_pk_fma_f32 v[8:9], v[8:9], v[16:17], v[32:33] op_sel_hi:[1,0,1]
	v_pk_fma_f32 v[22:23], v[22:23], v[16:17], v[34:35] op_sel_hi:[1,0,1]
	v_pk_fma_f32 v[4:5], v[26:27], v[10:11], v[4:5] op_sel_hi:[1,0,1] neg_lo:[1,0,0] neg_hi:[1,0,0]
	v_pk_fma_f32 v[10:11], v[20:21], v[16:17], v[12:13] op_sel_hi:[1,0,1] neg_lo:[1,0,0] neg_hi:[1,0,0]
	v_max_i32_e32 v21, 16, v0
	v_pk_add_f32 v[6:7], v[6:7], v[8:9] neg_lo:[0,1] neg_hi:[0,1]
	v_pk_add_f32 v[8:9], v[14:15], v[22:23] neg_lo:[0,1] neg_hi:[0,1]
	ds_store_2addr_stride64_b64 v2, v[4:5], v[6:7] offset1:8
	ds_store_2addr_stride64_b64 v2, v[10:11], v[8:9] offset0:16 offset1:32
	s_wait_dscnt 0x0
	s_barrier_signal -1
	s_barrier_wait -1
	ds_load_2addr_stride64_b64 v[4:7], v41 offset0:7 offset1:15
	ds_load_2addr_stride64_b64 v[8:11], v3 offset1:8
	v_min_u32_e32 v20, 0x1ef, v0
	ds_load_2addr_stride64_b64 v[12:15], v2 offset1:8
	ds_load_2addr_stride64_b64 v[16:19], v2 offset0:16 offset1:32
	v_subrev_nc_u32_e32 v26, 64, v36
	s_wait_dscnt 0x2
	v_dual_mul_f32 v28, v5, v5 :: v_dual_mul_f32 v29, v11, v11
	s_delay_alu instid0(VALU_DEP_1) | instskip(NEXT) | instid1(VALU_DEP_1)
	v_dual_fmac_f32 v28, v4, v4 :: v_dual_fmac_f32 v29, v10, v10
	v_div_scale_f32 v30, null, v28, v28, 1.0
	s_delay_alu instid0(VALU_DEP_2) | instskip(SKIP_1) | instid1(VALU_DEP_3)
	v_div_scale_f32 v31, null, v29, v29, 1.0
	v_div_scale_f32 v34, vcc_lo, 1.0, v28, 1.0
	v_rcp_f32_e32 v32, v30
	s_delay_alu instid0(VALU_DEP_2) | instskip(SKIP_1) | instid1(TRANS32_DEP_2)
	v_rcp_f32_e32 v33, v31
	v_div_scale_f32 v35, s3, 1.0, v29, 1.0
	v_fma_f32 v22, -v30, v32, 1.0
	s_delay_alu instid0(TRANS32_DEP_1) | instskip(NEXT) | instid1(VALU_DEP_1)
	v_fma_f32 v23, -v31, v33, 1.0
	v_dual_fmac_f32 v32, v22, v32 :: v_dual_fmac_f32 v33, v23, v33
	v_dual_lshlrev_b32 v37, 3, v21 :: v_dual_lshlrev_b32 v39, 3, v20
	ds_load_2addr_stride64_b64 v[20:23], v3 offset0:16 offset1:32
	v_dual_mul_f32 v38, v34, v32 :: v_dual_mul_f32 v40, v35, v33
	ds_load_b64 v[24:25], v36 offset:16320
	ds_load_b64 v[26:27], v26
	s_wait_dscnt 0x4
	v_mul_f32_e32 v36, v5, v13
	s_wait_dscnt 0x0
	v_dual_fma_f32 v42, -v30, v38, v34 :: v_dual_fma_f32 v3, -v31, v40, v35
	v_add_nc_u32_e32 v41, 0x180, v37
	s_barrier_signal -1
	s_barrier_wait -1
	s_delay_alu instid0(VALU_DEP_2) | instskip(SKIP_1) | instid1(VALU_DEP_2)
	v_dual_fmac_f32 v38, v42, v32 :: v_dual_fmac_f32 v40, v3, v33
	v_dual_mul_f32 v3, v5, -v12 :: v_dual_mul_f32 v5, v11, v17
	v_dual_mul_f32 v11, v11, -v16 :: v_dual_fma_f32 v30, -v30, v38, v34
	s_delay_alu instid0(VALU_DEP_3) | instskip(NEXT) | instid1(VALU_DEP_3)
	v_fma_f32 v31, -v31, v40, v35
	v_dual_fmac_f32 v3, v13, v4 :: v_dual_fmac_f32 v36, v12, v4
	s_delay_alu instid0(VALU_DEP_4) | instskip(NEXT) | instid1(VALU_DEP_4)
	v_fmac_f32_e32 v5, v16, v10
	v_div_fmas_f32 v30, v30, v32, v38
	s_mov_b32 vcc_lo, s3
	v_div_fmas_f32 v31, v31, v33, v40
	s_delay_alu instid0(VALU_DEP_2) | instskip(SKIP_1) | instid1(VALU_DEP_3)
	v_div_fixup_f32 v13, v30, v28, 1.0
	v_fmac_f32_e32 v11, v17, v10
	v_div_fixup_f32 v17, v31, v29, 1.0
	s_delay_alu instid0(VALU_DEP_3) | instskip(NEXT) | instid1(VALU_DEP_2)
	v_dual_mul_f32 v4, v3, v13 :: v_dual_add_nc_u32 v3, 0x80, v39
	v_dual_mul_f32 v10, v13, v36 :: v_dual_mul_f32 v12, v11, v17
	v_mul_f32_e32 v16, v17, v5
	s_delay_alu instid0(VALU_DEP_3)
	v_pk_mul_f32 v[28:29], v[4:5], v[6:7] op_sel:[0,1] op_sel_hi:[0,0] neg_lo:[0,1]
	v_pk_mul_f32 v[30:31], v[4:5], v[24:25] op_sel:[0,1] op_sel_hi:[0,0] neg_lo:[0,1]
	v_pk_mul_f32 v[4:5], v[4:5], v[26:27] op_sel:[0,1] op_sel_hi:[0,0] neg_hi:[0,1]
	v_pk_mul_f32 v[32:33], v[12:13], v[8:9] op_sel:[0,1] op_sel_hi:[0,0] neg_lo:[0,1]
	v_pk_mul_f32 v[34:35], v[12:13], v[22:23] op_sel:[0,1] op_sel_hi:[0,0] neg_lo:[0,1]
	v_pk_fma_f32 v[6:7], v[6:7], v[10:11], v[28:29] op_sel_hi:[1,0,1]
	v_pk_fma_f32 v[24:25], v[24:25], v[10:11], v[30:31] op_sel_hi:[1,0,1]
	v_pk_mul_f32 v[12:13], v[12:13], v[20:21] op_sel:[0,1] op_sel_hi:[0,0] neg_hi:[0,1]
	v_pk_fma_f32 v[8:9], v[8:9], v[16:17], v[32:33] op_sel_hi:[1,0,1]
	v_pk_fma_f32 v[22:23], v[22:23], v[16:17], v[34:35] op_sel_hi:[1,0,1]
	v_pk_add_f32 v[6:7], v[14:15], v[6:7] neg_lo:[0,1] neg_hi:[0,1]
	v_pk_add_f32 v[14:15], v[18:19], v[24:25] neg_lo:[0,1] neg_hi:[0,1]
	v_pk_fma_f32 v[4:5], v[26:27], v[10:11], v[4:5] op_sel_hi:[1,0,1] neg_lo:[1,0,0] neg_hi:[1,0,0]
	v_pk_fma_f32 v[10:11], v[20:21], v[16:17], v[12:13] op_sel_hi:[1,0,1] neg_lo:[1,0,0] neg_hi:[1,0,0]
	v_min_u32_e32 v20, 0x1df, v0
	v_pk_add_f32 v[6:7], v[6:7], v[8:9] neg_lo:[0,1] neg_hi:[0,1]
	v_pk_add_f32 v[8:9], v[14:15], v[22:23] neg_lo:[0,1] neg_hi:[0,1]
	ds_store_2addr_stride64_b64 v2, v[4:5], v[6:7] offset1:8
	ds_store_2addr_stride64_b64 v2, v[10:11], v[8:9] offset0:16 offset1:32
	s_wait_dscnt 0x0
	s_barrier_signal -1
	s_barrier_wait -1
	ds_load_2addr_stride64_b64 v[4:7], v41 offset0:7 offset1:15
	ds_load_2addr_stride64_b64 v[8:11], v3 offset1:8
	ds_load_2addr_stride64_b64 v[12:15], v2 offset1:8
	ds_load_2addr_stride64_b64 v[16:19], v2 offset0:16 offset1:32
	s_wait_dscnt 0x2
	v_dual_mul_f32 v29, v11, v11 :: v_dual_mul_f32 v28, v5, v5
	s_delay_alu instid0(VALU_DEP_1) | instskip(NEXT) | instid1(VALU_DEP_1)
	v_dual_fmac_f32 v29, v10, v10 :: v_dual_fmac_f32 v28, v4, v4
	v_div_scale_f32 v31, null, v29, v29, 1.0
	s_delay_alu instid0(VALU_DEP_2) | instskip(SKIP_1) | instid1(VALU_DEP_3)
	v_div_scale_f32 v30, null, v28, v28, 1.0
	v_div_scale_f32 v34, vcc_lo, 1.0, v28, 1.0
	v_rcp_f32_e32 v33, v31
	s_delay_alu instid0(VALU_DEP_2) | instskip(SKIP_1) | instid1(TRANS32_DEP_2)
	v_rcp_f32_e32 v32, v30
	v_div_scale_f32 v35, s3, 1.0, v29, 1.0
	v_fma_f32 v23, -v31, v33, 1.0
	s_delay_alu instid0(TRANS32_DEP_1) | instskip(NEXT) | instid1(VALU_DEP_2)
	v_fma_f32 v22, -v30, v32, 1.0
	v_dual_fmac_f32 v33, v23, v33 :: v_dual_max_i32 v21, 32, v0
	s_delay_alu instid0(VALU_DEP_1) | instskip(NEXT) | instid1(VALU_DEP_1)
	v_dual_fmac_f32 v32, v22, v32 :: v_dual_lshlrev_b32 v36, 3, v21
	v_dual_mul_f32 v40, v35, v33 :: v_dual_mul_f32 v38, v34, v32
	v_lshlrev_b32_e32 v39, 3, v20
	ds_load_2addr_stride64_b64 v[20:23], v3 offset0:16 offset1:32
	v_dual_fma_f32 v3, -v31, v40, v35 :: v_dual_fma_f32 v42, -v30, v38, v34
	s_delay_alu instid0(VALU_DEP_1) | instskip(NEXT) | instid1(VALU_DEP_2)
	v_dual_fmac_f32 v40, v3, v33 :: v_dual_add_nc_u32 v41, 0x100, v36
	v_fmac_f32_e32 v38, v42, v32
	s_wait_dscnt 0x2
	v_mul_f32_e64 v3, v5, -v12
	s_delay_alu instid0(VALU_DEP_1)
	v_dual_fmac_f32 v3, v13, v4 :: v_dual_add_nc_u32 v26, 0xffffff80, v37
	ds_load_b64 v[24:25], v37 offset:16256
	ds_load_b64 v[26:27], v26
	v_mul_f32_e32 v37, v5, v13
	s_wait_dscnt 0x3
	v_dual_mul_f32 v5, v11, v17 :: v_dual_fma_f32 v30, -v30, v38, v34
	v_mul_f32_e64 v11, v11, -v16
	s_wait_dscnt 0x0
	s_barrier_signal -1
	s_delay_alu instid0(VALU_DEP_2) | instskip(SKIP_4) | instid1(VALU_DEP_2)
	v_fmac_f32_e32 v5, v16, v10
	v_div_fmas_f32 v30, v30, v32, v38
	v_dual_fmac_f32 v37, v12, v4 :: v_dual_fmac_f32 v11, v17, v10
	s_mov_b32 vcc_lo, s3
	s_barrier_wait -1
	v_div_fixup_f32 v13, v30, v28, 1.0
	v_fma_f32 v31, -v31, v40, v35
	v_min_u32_e32 v38, 0x1bf, v0
	s_delay_alu instid0(VALU_DEP_3) | instskip(NEXT) | instid1(VALU_DEP_3)
	v_mul_f32_e32 v10, v13, v37
	v_div_fmas_f32 v31, v31, v33, v40
	v_dual_mul_f32 v4, v3, v13 :: v_dual_add_nc_u32 v3, 0x100, v39
	s_delay_alu instid0(VALU_DEP_2) | instskip(NEXT) | instid1(VALU_DEP_2)
	v_div_fixup_f32 v17, v31, v29, 1.0
	v_pk_mul_f32 v[28:29], v[4:5], v[6:7] op_sel:[0,1] op_sel_hi:[0,0] neg_lo:[0,1]
	v_pk_mul_f32 v[30:31], v[4:5], v[24:25] op_sel:[0,1] op_sel_hi:[0,0] neg_lo:[0,1]
	s_delay_alu instid0(VALU_DEP_3) | instskip(SKIP_1) | instid1(VALU_DEP_4)
	v_mul_f32_e32 v12, v11, v17
	v_mul_f32_e32 v16, v17, v5
	v_pk_fma_f32 v[6:7], v[6:7], v[10:11], v[28:29] op_sel_hi:[1,0,1]
	s_delay_alu instid0(VALU_DEP_4)
	v_pk_fma_f32 v[24:25], v[24:25], v[10:11], v[30:31] op_sel_hi:[1,0,1]
	v_pk_mul_f32 v[4:5], v[4:5], v[26:27] op_sel:[0,1] op_sel_hi:[0,0] neg_hi:[0,1]
	v_pk_mul_f32 v[32:33], v[12:13], v[8:9] op_sel:[0,1] op_sel_hi:[0,0] neg_lo:[0,1]
	v_pk_mul_f32 v[34:35], v[12:13], v[22:23] op_sel:[0,1] op_sel_hi:[0,0] neg_lo:[0,1]
	v_pk_add_f32 v[6:7], v[14:15], v[6:7] neg_lo:[0,1] neg_hi:[0,1]
	v_pk_mul_f32 v[12:13], v[12:13], v[20:21] op_sel:[0,1] op_sel_hi:[0,0] neg_hi:[0,1]
	v_pk_add_f32 v[14:15], v[18:19], v[24:25] neg_lo:[0,1] neg_hi:[0,1]
	v_pk_fma_f32 v[8:9], v[8:9], v[16:17], v[32:33] op_sel_hi:[1,0,1]
	v_pk_fma_f32 v[22:23], v[22:23], v[16:17], v[34:35] op_sel_hi:[1,0,1]
	v_pk_fma_f32 v[4:5], v[26:27], v[10:11], v[4:5] op_sel_hi:[1,0,1] neg_lo:[1,0,0] neg_hi:[1,0,0]
	v_pk_fma_f32 v[10:11], v[20:21], v[16:17], v[12:13] op_sel_hi:[1,0,1] neg_lo:[1,0,0] neg_hi:[1,0,0]
	s_delay_alu instid0(VALU_DEP_4) | instskip(NEXT) | instid1(VALU_DEP_4)
	v_pk_add_f32 v[6:7], v[6:7], v[8:9] neg_lo:[0,1] neg_hi:[0,1]
	v_pk_add_f32 v[8:9], v[14:15], v[22:23] neg_lo:[0,1] neg_hi:[0,1]
	ds_store_2addr_stride64_b64 v2, v[4:5], v[6:7] offset1:8
	ds_store_2addr_stride64_b64 v2, v[10:11], v[8:9] offset0:16 offset1:32
	s_wait_dscnt 0x0
	s_barrier_signal -1
	s_barrier_wait -1
	ds_load_2addr_stride64_b64 v[4:7], v41 offset0:7 offset1:15
	ds_load_2addr_stride64_b64 v[8:11], v3 offset1:8
	ds_load_2addr_stride64_b64 v[12:15], v2 offset1:8
	ds_load_2addr_stride64_b64 v[16:19], v2 offset0:16 offset1:32
	s_wait_dscnt 0x2
	v_dual_mul_f32 v29, v11, v11 :: v_dual_mul_f32 v28, v5, v5
	s_delay_alu instid0(VALU_DEP_1) | instskip(NEXT) | instid1(VALU_DEP_1)
	v_dual_fmac_f32 v29, v10, v10 :: v_dual_fmac_f32 v28, v4, v4
	v_div_scale_f32 v31, null, v29, v29, 1.0
	s_delay_alu instid0(VALU_DEP_2) | instskip(SKIP_1) | instid1(VALU_DEP_3)
	v_div_scale_f32 v30, null, v28, v28, 1.0
	v_div_scale_f32 v34, vcc_lo, 1.0, v28, 1.0
	v_rcp_f32_e32 v33, v31
	s_delay_alu instid0(VALU_DEP_2) | instskip(SKIP_1) | instid1(TRANS32_DEP_2)
	v_rcp_f32_e32 v32, v30
	v_div_scale_f32 v35, s3, 1.0, v29, 1.0
	v_fma_f32 v21, -v31, v33, 1.0
	s_delay_alu instid0(TRANS32_DEP_1) | instskip(NEXT) | instid1(VALU_DEP_1)
	v_fma_f32 v20, -v30, v32, 1.0
	v_dual_fmac_f32 v33, v21, v33 :: v_dual_fmac_f32 v32, v20, v32
	s_delay_alu instid0(VALU_DEP_1) | instskip(NEXT) | instid1(VALU_DEP_2)
	v_dual_mul_f32 v39, v35, v33 :: v_dual_max_i32 v20, 64, v0
	v_mul_f32_e32 v37, v34, v32
	s_delay_alu instid0(VALU_DEP_2) | instskip(SKIP_2) | instid1(VALU_DEP_1)
	v_lshlrev_b32_e32 v40, 3, v20
	ds_load_2addr_stride64_b64 v[20:23], v3 offset0:16 offset1:32
	v_dual_fma_f32 v3, -v31, v39, v35 :: v_dual_fma_f32 v41, -v30, v37, v34
	v_dual_fmac_f32 v39, v3, v33 :: v_dual_add_nc_u32 v26, 0xffffff00, v36
	s_delay_alu instid0(VALU_DEP_2)
	v_fmac_f32_e32 v37, v41, v32
	ds_load_b64 v[24:25], v36 offset:16128
	ds_load_b64 v[26:27], v26
	s_wait_dscnt 0x4
	v_dual_mul_f32 v36, v5, v13 :: v_dual_mul_f32 v3, v5, -v12
	s_wait_dscnt 0x3
	v_mul_f32_e32 v5, v11, v17
	v_dual_fma_f32 v30, -v30, v37, v34 :: v_dual_mul_f32 v11, v11, -v16
	s_delay_alu instid0(VALU_DEP_3) | instskip(NEXT) | instid1(VALU_DEP_3)
	v_dual_fma_f32 v31, -v31, v39, v35 :: v_dual_fmac_f32 v36, v12, v4
	v_dual_fmac_f32 v3, v13, v4 :: v_dual_fmac_f32 v5, v16, v10
	s_delay_alu instid0(VALU_DEP_3)
	v_div_fmas_f32 v30, v30, v32, v37
	s_mov_b32 vcc_lo, s3
	s_wait_dscnt 0x0
	v_div_fmas_f32 v31, v31, v33, v39
	s_barrier_signal -1
	v_div_fixup_f32 v13, v30, v28, 1.0
	v_fmac_f32_e32 v11, v17, v10
	s_barrier_wait -1
	v_div_fixup_f32 v17, v31, v29, 1.0
	s_delay_alu instid0(VALU_DEP_3) | instskip(NEXT) | instid1(VALU_DEP_2)
	v_dual_mul_f32 v4, v3, v13 :: v_dual_lshlrev_b32 v3, 3, v38
	v_dual_mul_f32 v10, v13, v36 :: v_dual_mul_f32 v12, v11, v17
	v_mul_f32_e32 v16, v17, v5
	s_delay_alu instid0(VALU_DEP_3)
	v_pk_mul_f32 v[28:29], v[4:5], v[6:7] op_sel:[0,1] op_sel_hi:[0,0] neg_lo:[0,1]
	v_pk_mul_f32 v[30:31], v[4:5], v[24:25] op_sel:[0,1] op_sel_hi:[0,0] neg_lo:[0,1]
	v_pk_mul_f32 v[4:5], v[4:5], v[26:27] op_sel:[0,1] op_sel_hi:[0,0] neg_hi:[0,1]
	v_pk_mul_f32 v[32:33], v[12:13], v[8:9] op_sel:[0,1] op_sel_hi:[0,0] neg_lo:[0,1]
	v_pk_mul_f32 v[34:35], v[12:13], v[22:23] op_sel:[0,1] op_sel_hi:[0,0] neg_lo:[0,1]
	v_pk_fma_f32 v[6:7], v[6:7], v[10:11], v[28:29] op_sel_hi:[1,0,1]
	v_pk_fma_f32 v[24:25], v[24:25], v[10:11], v[30:31] op_sel_hi:[1,0,1]
	v_pk_mul_f32 v[12:13], v[12:13], v[20:21] op_sel:[0,1] op_sel_hi:[0,0] neg_hi:[0,1]
	v_pk_fma_f32 v[8:9], v[8:9], v[16:17], v[32:33] op_sel_hi:[1,0,1]
	v_pk_fma_f32 v[22:23], v[22:23], v[16:17], v[34:35] op_sel_hi:[1,0,1]
	v_pk_add_f32 v[6:7], v[14:15], v[6:7] neg_lo:[0,1] neg_hi:[0,1]
	v_pk_add_f32 v[14:15], v[18:19], v[24:25] neg_lo:[0,1] neg_hi:[0,1]
	v_pk_fma_f32 v[4:5], v[26:27], v[10:11], v[4:5] op_sel_hi:[1,0,1] neg_lo:[1,0,0] neg_hi:[1,0,0]
	v_pk_fma_f32 v[10:11], v[20:21], v[16:17], v[12:13] op_sel_hi:[1,0,1] neg_lo:[1,0,0] neg_hi:[1,0,0]
	v_min_u32_e32 v37, 0x17f, v0
	v_pk_add_f32 v[6:7], v[6:7], v[8:9] neg_lo:[0,1] neg_hi:[0,1]
	v_pk_add_f32 v[8:9], v[14:15], v[22:23] neg_lo:[0,1] neg_hi:[0,1]
	ds_store_2addr_stride64_b64 v2, v[4:5], v[6:7] offset1:8
	ds_store_2addr_stride64_b64 v2, v[10:11], v[8:9] offset0:16 offset1:32
	s_wait_dscnt 0x0
	s_barrier_signal -1
	s_barrier_wait -1
	ds_load_2addr_stride64_b64 v[4:7], v40 offset0:7 offset1:15
	ds_load_2addr_stride64_b64 v[8:11], v3 offset0:1 offset1:9
	ds_load_2addr_stride64_b64 v[12:15], v2 offset1:8
	ds_load_2addr_stride64_b64 v[16:19], v2 offset0:16 offset1:32
	s_wait_dscnt 0x2
	v_dual_mul_f32 v29, v11, v11 :: v_dual_add_nc_u32 v26, 0xfffffe00, v40
	s_delay_alu instid0(VALU_DEP_1) | instskip(NEXT) | instid1(VALU_DEP_1)
	v_dual_mul_f32 v28, v5, v5 :: v_dual_fmac_f32 v29, v10, v10
	v_fmac_f32_e32 v28, v4, v4
	s_delay_alu instid0(VALU_DEP_2) | instskip(NEXT) | instid1(VALU_DEP_2)
	v_div_scale_f32 v31, null, v29, v29, 1.0
	v_div_scale_f32 v30, null, v28, v28, 1.0
	v_div_scale_f32 v34, vcc_lo, 1.0, v28, 1.0
	s_delay_alu instid0(VALU_DEP_3) | instskip(NEXT) | instid1(VALU_DEP_2)
	v_rcp_f32_e32 v33, v31
	v_rcp_f32_e32 v32, v30
	v_div_scale_f32 v35, s3, 1.0, v29, 1.0
	s_delay_alu instid0(TRANS32_DEP_2) | instskip(NEXT) | instid1(TRANS32_DEP_1)
	v_fma_f32 v21, -v31, v33, 1.0
	v_fma_f32 v20, -v30, v32, 1.0
	s_delay_alu instid0(VALU_DEP_1) | instskip(SKIP_1) | instid1(VALU_DEP_2)
	v_dual_fmac_f32 v33, v21, v33 :: v_dual_fmac_f32 v32, v20, v32
	v_max_i32_e32 v20, 0x80, v0
	v_dual_mul_f32 v38, v35, v33 :: v_dual_mul_f32 v36, v34, v32
	s_delay_alu instid0(VALU_DEP_2)
	v_lshlrev_b32_e32 v39, 3, v20
	ds_load_2addr_stride64_b64 v[20:23], v3 offset0:17 offset1:33
	ds_load_b64 v[24:25], v40 offset:15872
	ds_load_b64 v[26:27], v26
	v_dual_fma_f32 v3, -v31, v38, v35 :: v_dual_fma_f32 v41, -v30, v36, v34
	s_wait_dscnt 0x4
	v_mul_f32_e32 v40, v5, v13
	s_wait_dscnt 0x0
	s_barrier_signal -1
	v_dual_fmac_f32 v38, v3, v33 :: v_dual_fmac_f32 v36, v41, v32
	v_dual_mul_f32 v3, v5, -v12 :: v_dual_mul_f32 v5, v11, v17
	v_mul_f32_e64 v11, v11, -v16
	s_delay_alu instid0(VALU_DEP_3) | instskip(NEXT) | instid1(VALU_DEP_3)
	v_dual_fma_f32 v31, -v31, v38, v35 :: v_dual_fma_f32 v30, -v30, v36, v34
	v_dual_fmac_f32 v3, v13, v4 :: v_dual_fmac_f32 v40, v12, v4
	s_delay_alu instid0(VALU_DEP_4) | instskip(SKIP_1) | instid1(VALU_DEP_3)
	v_fmac_f32_e32 v5, v16, v10
	s_barrier_wait -1
	v_div_fmas_f32 v30, v30, v32, v36
	s_mov_b32 vcc_lo, s3
	v_div_fmas_f32 v31, v31, v33, v38
	s_delay_alu instid0(VALU_DEP_2) | instskip(NEXT) | instid1(VALU_DEP_1)
	v_div_fixup_f32 v13, v30, v28, 1.0
	v_mul_f32_e32 v4, v3, v13
	v_dual_lshlrev_b32 v3, 3, v37 :: v_dual_fmac_f32 v11, v17, v10
	s_delay_alu instid0(VALU_DEP_4) | instskip(SKIP_1) | instid1(VALU_DEP_4)
	v_div_fixup_f32 v17, v31, v29, 1.0
	v_mul_f32_e32 v10, v13, v40
	v_pk_mul_f32 v[28:29], v[4:5], v[6:7] op_sel:[0,1] op_sel_hi:[0,0] neg_lo:[0,1]
	v_pk_mul_f32 v[30:31], v[4:5], v[24:25] op_sel:[0,1] op_sel_hi:[0,0] neg_lo:[0,1]
	s_delay_alu instid0(VALU_DEP_4) | instskip(SKIP_1) | instid1(VALU_DEP_4)
	v_mul_f32_e32 v12, v11, v17
	v_mul_f32_e32 v16, v17, v5
	v_pk_fma_f32 v[6:7], v[6:7], v[10:11], v[28:29] op_sel_hi:[1,0,1]
	s_delay_alu instid0(VALU_DEP_4)
	v_pk_fma_f32 v[24:25], v[24:25], v[10:11], v[30:31] op_sel_hi:[1,0,1]
	v_pk_mul_f32 v[4:5], v[4:5], v[26:27] op_sel:[0,1] op_sel_hi:[0,0] neg_hi:[0,1]
	v_pk_mul_f32 v[32:33], v[12:13], v[8:9] op_sel:[0,1] op_sel_hi:[0,0] neg_lo:[0,1]
	v_pk_mul_f32 v[34:35], v[12:13], v[22:23] op_sel:[0,1] op_sel_hi:[0,0] neg_lo:[0,1]
	v_pk_add_f32 v[6:7], v[14:15], v[6:7] neg_lo:[0,1] neg_hi:[0,1]
	v_pk_mul_f32 v[12:13], v[12:13], v[20:21] op_sel:[0,1] op_sel_hi:[0,0] neg_hi:[0,1]
	v_pk_add_f32 v[14:15], v[18:19], v[24:25] neg_lo:[0,1] neg_hi:[0,1]
	v_pk_fma_f32 v[8:9], v[8:9], v[16:17], v[32:33] op_sel_hi:[1,0,1]
	v_pk_fma_f32 v[22:23], v[22:23], v[16:17], v[34:35] op_sel_hi:[1,0,1]
	v_pk_fma_f32 v[4:5], v[26:27], v[10:11], v[4:5] op_sel_hi:[1,0,1] neg_lo:[1,0,0] neg_hi:[1,0,0]
	v_pk_fma_f32 v[10:11], v[20:21], v[16:17], v[12:13] op_sel_hi:[1,0,1] neg_lo:[1,0,0] neg_hi:[1,0,0]
	s_delay_alu instid0(VALU_DEP_4) | instskip(NEXT) | instid1(VALU_DEP_4)
	v_pk_add_f32 v[6:7], v[6:7], v[8:9] neg_lo:[0,1] neg_hi:[0,1]
	v_pk_add_f32 v[8:9], v[14:15], v[22:23] neg_lo:[0,1] neg_hi:[0,1]
	ds_store_2addr_stride64_b64 v2, v[4:5], v[6:7] offset1:8
	ds_store_2addr_stride64_b64 v2, v[10:11], v[8:9] offset0:16 offset1:32
	s_wait_dscnt 0x0
	s_barrier_signal -1
	s_barrier_wait -1
	ds_load_2addr_stride64_b64 v[4:7], v39 offset0:6 offset1:14
	ds_load_2addr_stride64_b64 v[8:11], v3 offset0:2 offset1:10
	ds_load_2addr_stride64_b64 v[12:15], v2 offset1:8
	ds_load_2addr_stride64_b64 v[16:19], v2 offset0:16 offset1:32
	s_wait_dscnt 0x2
	v_dual_mul_f32 v29, v11, v11 :: v_dual_mul_f32 v28, v5, v5
	s_delay_alu instid0(VALU_DEP_1) | instskip(NEXT) | instid1(VALU_DEP_1)
	v_dual_fmac_f32 v29, v10, v10 :: v_dual_fmac_f32 v28, v4, v4
	v_div_scale_f32 v31, null, v29, v29, 1.0
	s_delay_alu instid0(VALU_DEP_2) | instskip(SKIP_1) | instid1(VALU_DEP_3)
	v_div_scale_f32 v30, null, v28, v28, 1.0
	v_div_scale_f32 v34, vcc_lo, 1.0, v28, 1.0
	v_rcp_f32_e32 v33, v31
	s_delay_alu instid0(VALU_DEP_2) | instskip(SKIP_1) | instid1(TRANS32_DEP_2)
	v_rcp_f32_e32 v32, v30
	v_div_scale_f32 v35, s3, 1.0, v29, 1.0
	v_fma_f32 v21, -v31, v33, 1.0
	s_delay_alu instid0(TRANS32_DEP_1) | instskip(NEXT) | instid1(VALU_DEP_1)
	v_fma_f32 v20, -v30, v32, 1.0
	v_dual_fmac_f32 v33, v21, v33 :: v_dual_fmac_f32 v32, v20, v32
	ds_load_2addr_stride64_b64 v[20:23], v3 offset0:18 offset1:34
	v_dual_mul_f32 v37, v35, v33 :: v_dual_mul_f32 v36, v34, v32
	s_delay_alu instid0(VALU_DEP_1) | instskip(NEXT) | instid1(VALU_DEP_1)
	v_dual_fma_f32 v3, -v31, v37, v35 :: v_dual_fma_f32 v38, -v30, v36, v34
	v_dual_fmac_f32 v37, v3, v33 :: v_dual_add_nc_u32 v26, 0xfffffc00, v39
	s_wait_dscnt 0x2
	s_delay_alu instid0(VALU_DEP_2)
	v_dual_fmac_f32 v36, v38, v32 :: v_dual_mul_f32 v38, v5, v13
	ds_load_b64 v[24:25], v39 offset:15360
	ds_load_b64 v[26:27], v26
	s_wait_dscnt 0x3
	v_dual_mul_f32 v3, v5, -v12 :: v_dual_mul_f32 v5, v11, v17
	v_dual_fma_f32 v30, -v30, v36, v34 :: v_dual_fma_f32 v31, -v31, v37, v35
	v_mul_f32_e64 v11, v11, -v16
	s_delay_alu instid0(VALU_DEP_3) | instskip(NEXT) | instid1(VALU_DEP_3)
	v_dual_fmac_f32 v3, v13, v4 :: v_dual_fmac_f32 v38, v12, v4
	v_div_fmas_f32 v30, v30, v32, v36
	s_mov_b32 vcc_lo, s3
	v_fmac_f32_e32 v5, v16, v10
	v_div_fmas_f32 v31, v31, v33, v37
	v_cmp_gt_u32_e32 vcc_lo, 0x100, v0
	v_div_fixup_f32 v13, v30, v28, 1.0
	v_fmac_f32_e32 v11, v17, v10
	s_wait_dscnt 0x0
	v_div_fixup_f32 v12, v31, v29, 1.0
	s_barrier_signal -1
	v_dual_mul_f32 v4, v3, v13 :: v_dual_mul_f32 v0, v13, v38
	s_barrier_wait -1
	s_delay_alu instid0(VALU_DEP_2) | instskip(NEXT) | instid1(VALU_DEP_2)
	v_dual_mul_f32 v10, v11, v12 :: v_dual_mul_f32 v12, v12, v5
	v_pk_mul_f32 v[16:17], v[4:5], v[6:7] op_sel:[0,1] op_sel_hi:[0,0] neg_lo:[0,1]
	v_pk_mul_f32 v[28:29], v[4:5], v[24:25] op_sel:[0,1] op_sel_hi:[0,0] neg_lo:[0,1]
	v_pk_mul_f32 v[4:5], v[4:5], v[26:27] op_sel:[0,1] op_sel_hi:[0,0] neg_hi:[0,1]
	s_delay_alu instid0(VALU_DEP_4)
	v_pk_mul_f32 v[30:31], v[10:11], v[8:9] op_sel:[0,1] op_sel_hi:[0,0] neg_lo:[0,1]
	v_pk_mul_f32 v[32:33], v[10:11], v[22:23] op_sel:[0,1] op_sel_hi:[0,0] neg_lo:[0,1]
	v_pk_fma_f32 v[6:7], v[6:7], v[0:1], v[16:17] op_sel_hi:[1,0,1]
	v_pk_fma_f32 v[16:17], v[24:25], v[0:1], v[28:29] op_sel_hi:[1,0,1]
	v_pk_mul_f32 v[10:11], v[10:11], v[20:21] op_sel:[0,1] op_sel_hi:[0,0] neg_hi:[0,1]
	v_pk_fma_f32 v[8:9], v[8:9], v[12:13], v[30:31] op_sel_hi:[1,0,1]
	v_pk_fma_f32 v[22:23], v[22:23], v[12:13], v[32:33] op_sel_hi:[1,0,1]
	v_pk_add_f32 v[6:7], v[14:15], v[6:7] neg_lo:[0,1] neg_hi:[0,1]
	v_pk_add_f32 v[14:15], v[18:19], v[16:17] neg_lo:[0,1] neg_hi:[0,1]
	v_pk_fma_f32 v[4:5], v[26:27], v[0:1], v[4:5] op_sel_hi:[1,0,1] neg_lo:[1,0,0] neg_hi:[1,0,0]
	v_pk_fma_f32 v[10:11], v[20:21], v[12:13], v[10:11] op_sel_hi:[1,0,1] neg_lo:[1,0,0] neg_hi:[1,0,0]
	s_delay_alu instid0(VALU_DEP_4) | instskip(NEXT) | instid1(VALU_DEP_4)
	v_pk_add_f32 v[6:7], v[6:7], v[8:9] neg_lo:[0,1] neg_hi:[0,1]
	v_pk_add_f32 v[8:9], v[14:15], v[22:23] neg_lo:[0,1] neg_hi:[0,1]
	ds_store_2addr_stride64_b64 v2, v[4:5], v[6:7] offset1:8
	ds_store_2addr_stride64_b64 v2, v[10:11], v[8:9] offset0:16 offset1:32
	s_wait_dscnt 0x0
	s_barrier_signal -1
	s_barrier_wait -1
	s_and_saveexec_b32 s3, vcc_lo
	s_cbranch_execz .LBB62_2
; %bb.1:
	v_or_b32_e32 v0, 0x1000, v2
	v_or_b32_e32 v3, 0x2000, v2
	;; [unrolled: 1-line block ×3, first 2 shown]
	ds_load_2addr_stride64_b64 v[4:7], v0 offset1:4
	ds_load_b64 v[8:9], v3
	ds_load_b32 v0, v19
	ds_load_b64 v[10:11], v19
	ds_load_b64 v[12:13], v2 offset:2048
	s_wait_dscnt 0x4
	v_pk_mul_f32 v[14:15], v[4:5], v[6:7] op_sel:[1,1] op_sel_hi:[1,0] neg_lo:[0,1]
	s_wait_dscnt 0x0
	v_pk_mul_f32 v[16:17], v[12:13], v[8:9] op_sel:[1,1] op_sel_hi:[1,0] neg_lo:[0,1]
	s_delay_alu instid0(VALU_DEP_2) | instskip(SKIP_1) | instid1(VALU_DEP_3)
	v_pk_fma_f32 v[14:15], v[6:7], v[4:5], v[14:15] op_sel_hi:[1,0,1]
	v_pk_mul_f32 v[26:27], v[12:13], v[10:11] op_sel:[1,1] op_sel_hi:[1,0] neg_lo:[0,1]
	v_pk_fma_f32 v[16:17], v[8:9], v[12:13], v[16:17] op_sel_hi:[1,0,1]
	s_delay_alu instid0(VALU_DEP_2) | instskip(NEXT) | instid1(VALU_DEP_2)
	v_pk_fma_f32 v[10:11], v[10:11], v[12:13], v[26:27] op_sel_hi:[1,0,1]
	v_pk_add_f32 v[14:15], v[14:15], v[16:17] neg_lo:[0,1] neg_hi:[0,1]
	ds_load_b32 v16, v19 offset:4
	ds_load_b32 v18, v19 offset:2052
	ds_load_b64 v[20:21], v19 offset:2048
	ds_load_b32 v22, v19 offset:2048
	v_mul_f32_e32 v3, v15, v15
	s_delay_alu instid0(VALU_DEP_1) | instskip(NEXT) | instid1(VALU_DEP_1)
	v_fmac_f32_e32 v3, v14, v14
	v_div_scale_f32 v23, null, v3, v3, 1.0
	v_div_scale_f32 v24, vcc_lo, 1.0, v3, 1.0
	s_delay_alu instid0(VALU_DEP_2) | instskip(SKIP_2) | instid1(TRANS32_DEP_1)
	v_rcp_f32_e32 v28, v23
	s_wait_dscnt 0x2
	v_pk_mul_f32 v[18:19], v[18:19], v[8:9] op_sel:[0,1] op_sel_hi:[0,0] neg_lo:[0,1]
	v_fma_f32 v17, -v23, v28, 1.0
	s_delay_alu instid0(VALU_DEP_1) | instskip(NEXT) | instid1(VALU_DEP_1)
	v_fmac_f32_e32 v28, v17, v28
	v_mul_f32_e32 v29, v24, v28
	s_delay_alu instid0(VALU_DEP_1) | instskip(NEXT) | instid1(VALU_DEP_1)
	v_fma_f32 v17, -v23, v29, v24
	v_fmac_f32_e32 v29, v17, v28
	s_delay_alu instid0(VALU_DEP_1) | instskip(SKIP_3) | instid1(VALU_DEP_3)
	v_fma_f32 v23, -v23, v29, v24
	v_pk_mul_f32 v[16:17], v[16:17], v[6:7] op_sel:[0,1] op_sel_hi:[0,0] neg_lo:[0,1]
	s_wait_dscnt 0x1
	v_pk_mul_f32 v[24:25], v[4:5], v[20:21] op_sel:[1,1] op_sel_hi:[1,0] neg_lo:[0,1]
	v_div_fmas_f32 v23, v23, v28, v29
	s_delay_alu instid0(VALU_DEP_3) | instskip(NEXT) | instid1(VALU_DEP_3)
	v_pk_fma_f32 v[6:7], v[6:7], v[0:1], v[16:17] op_sel_hi:[1,0,1]
	v_pk_fma_f32 v[4:5], v[20:21], v[4:5], v[24:25] op_sel_hi:[1,0,1]
	v_fma_f32 v0, v14, 0, -v15
	s_wait_dscnt 0x0
	v_pk_fma_f32 v[8:9], v[8:9], v[22:23], v[18:19] op_sel_hi:[1,0,1]
	v_div_fixup_f32 v3, v23, v3, 1.0
	v_pk_add_f32 v[4:5], v[4:5], v[10:11] neg_lo:[0,1] neg_hi:[0,1]
	s_delay_alu instid0(VALU_DEP_3) | instskip(SKIP_1) | instid1(VALU_DEP_4)
	v_pk_add_f32 v[6:7], v[6:7], v[8:9] neg_lo:[0,1] neg_hi:[0,1]
	v_fma_f32 v8, 0, v15, v14
	v_mul_f32_e32 v0, v0, v3
	s_delay_alu instid0(VALU_DEP_2) | instskip(NEXT) | instid1(VALU_DEP_2)
	v_mul_f32_e32 v8, v8, v3
	v_pk_mul_f32 v[10:11], v[0:1], v[6:7] op_sel:[0,1] op_sel_hi:[0,0] neg_lo:[0,1]
	v_pk_mul_f32 v[12:13], v[0:1], v[4:5] op_sel:[0,1] op_sel_hi:[0,0] neg_lo:[0,1]
	s_delay_alu instid0(VALU_DEP_2) | instskip(NEXT) | instid1(VALU_DEP_2)
	v_pk_fma_f32 v[6:7], v[6:7], v[8:9], v[10:11] op_sel_hi:[1,0,1]
	v_pk_fma_f32 v[4:5], v[4:5], v[8:9], v[12:13] op_sel_hi:[1,0,1]
	ds_store_2addr_stride64_b64 v2, v[6:7], v[4:5] offset0:24 offset1:28
.LBB62_2:
	s_or_b32 exec_lo, exec_lo, s3
	s_wait_dscnt 0x0
	s_barrier_signal -1
	s_barrier_wait -1
	s_and_saveexec_b32 s3, s2
	s_cbranch_execz .LBB62_4
; %bb.3:
	s_clause 0x1
	s_load_b32 s5, s[0:1], 0x8
	s_load_b64 s[2:3], s[0:1], 0x30
	ds_load_b64 v[2:3], v2 offset:12288
	s_wait_kmcnt 0x0
	v_mad_u32 v0, s5, s4, v1
	s_wait_dscnt 0x0
	global_store_b64 v0, v[2:3], s[2:3] scale_offset
.LBB62_4:
	s_endpgm
	.section	.rodata,"a",@progbits
	.p2align	6, 0x0
	.amdhsa_kernel _ZN9rocsparseL44gtsv_nopivot_strided_batch_pcr_stage2_kernelILj512E21rocsparse_complex_numIfEEEviiiPKT0_S5_S5_S5_PS3_
		.amdhsa_group_segment_fixed_size 20480
		.amdhsa_private_segment_fixed_size 0
		.amdhsa_kernarg_size 312
		.amdhsa_user_sgpr_count 2
		.amdhsa_user_sgpr_dispatch_ptr 0
		.amdhsa_user_sgpr_queue_ptr 0
		.amdhsa_user_sgpr_kernarg_segment_ptr 1
		.amdhsa_user_sgpr_dispatch_id 0
		.amdhsa_user_sgpr_kernarg_preload_length 0
		.amdhsa_user_sgpr_kernarg_preload_offset 0
		.amdhsa_user_sgpr_private_segment_size 0
		.amdhsa_wavefront_size32 1
		.amdhsa_uses_dynamic_stack 0
		.amdhsa_enable_private_segment 0
		.amdhsa_system_sgpr_workgroup_id_x 1
		.amdhsa_system_sgpr_workgroup_id_y 1
		.amdhsa_system_sgpr_workgroup_id_z 0
		.amdhsa_system_sgpr_workgroup_info 0
		.amdhsa_system_vgpr_workitem_id 0
		.amdhsa_next_free_vgpr 43
		.amdhsa_next_free_sgpr 17
		.amdhsa_named_barrier_count 0
		.amdhsa_reserve_vcc 1
		.amdhsa_float_round_mode_32 0
		.amdhsa_float_round_mode_16_64 0
		.amdhsa_float_denorm_mode_32 3
		.amdhsa_float_denorm_mode_16_64 3
		.amdhsa_fp16_overflow 0
		.amdhsa_memory_ordered 1
		.amdhsa_forward_progress 1
		.amdhsa_inst_pref_size 40
		.amdhsa_round_robin_scheduling 0
		.amdhsa_exception_fp_ieee_invalid_op 0
		.amdhsa_exception_fp_denorm_src 0
		.amdhsa_exception_fp_ieee_div_zero 0
		.amdhsa_exception_fp_ieee_overflow 0
		.amdhsa_exception_fp_ieee_underflow 0
		.amdhsa_exception_fp_ieee_inexact 0
		.amdhsa_exception_int_div_zero 0
	.end_amdhsa_kernel
	.section	.text._ZN9rocsparseL44gtsv_nopivot_strided_batch_pcr_stage2_kernelILj512E21rocsparse_complex_numIfEEEviiiPKT0_S5_S5_S5_PS3_,"axG",@progbits,_ZN9rocsparseL44gtsv_nopivot_strided_batch_pcr_stage2_kernelILj512E21rocsparse_complex_numIfEEEviiiPKT0_S5_S5_S5_PS3_,comdat
.Lfunc_end62:
	.size	_ZN9rocsparseL44gtsv_nopivot_strided_batch_pcr_stage2_kernelILj512E21rocsparse_complex_numIfEEEviiiPKT0_S5_S5_S5_PS3_, .Lfunc_end62-_ZN9rocsparseL44gtsv_nopivot_strided_batch_pcr_stage2_kernelILj512E21rocsparse_complex_numIfEEEviiiPKT0_S5_S5_S5_PS3_
                                        ; -- End function
	.set _ZN9rocsparseL44gtsv_nopivot_strided_batch_pcr_stage2_kernelILj512E21rocsparse_complex_numIfEEEviiiPKT0_S5_S5_S5_PS3_.num_vgpr, 43
	.set _ZN9rocsparseL44gtsv_nopivot_strided_batch_pcr_stage2_kernelILj512E21rocsparse_complex_numIfEEEviiiPKT0_S5_S5_S5_PS3_.num_agpr, 0
	.set _ZN9rocsparseL44gtsv_nopivot_strided_batch_pcr_stage2_kernelILj512E21rocsparse_complex_numIfEEEviiiPKT0_S5_S5_S5_PS3_.numbered_sgpr, 17
	.set _ZN9rocsparseL44gtsv_nopivot_strided_batch_pcr_stage2_kernelILj512E21rocsparse_complex_numIfEEEviiiPKT0_S5_S5_S5_PS3_.num_named_barrier, 0
	.set _ZN9rocsparseL44gtsv_nopivot_strided_batch_pcr_stage2_kernelILj512E21rocsparse_complex_numIfEEEviiiPKT0_S5_S5_S5_PS3_.private_seg_size, 0
	.set _ZN9rocsparseL44gtsv_nopivot_strided_batch_pcr_stage2_kernelILj512E21rocsparse_complex_numIfEEEviiiPKT0_S5_S5_S5_PS3_.uses_vcc, 1
	.set _ZN9rocsparseL44gtsv_nopivot_strided_batch_pcr_stage2_kernelILj512E21rocsparse_complex_numIfEEEviiiPKT0_S5_S5_S5_PS3_.uses_flat_scratch, 0
	.set _ZN9rocsparseL44gtsv_nopivot_strided_batch_pcr_stage2_kernelILj512E21rocsparse_complex_numIfEEEviiiPKT0_S5_S5_S5_PS3_.has_dyn_sized_stack, 0
	.set _ZN9rocsparseL44gtsv_nopivot_strided_batch_pcr_stage2_kernelILj512E21rocsparse_complex_numIfEEEviiiPKT0_S5_S5_S5_PS3_.has_recursion, 0
	.set _ZN9rocsparseL44gtsv_nopivot_strided_batch_pcr_stage2_kernelILj512E21rocsparse_complex_numIfEEEviiiPKT0_S5_S5_S5_PS3_.has_indirect_call, 0
	.section	.AMDGPU.csdata,"",@progbits
; Kernel info:
; codeLenInByte = 5116
; TotalNumSgprs: 19
; NumVgprs: 43
; ScratchSize: 0
; MemoryBound: 0
; FloatMode: 240
; IeeeMode: 1
; LDSByteSize: 20480 bytes/workgroup (compile time only)
; SGPRBlocks: 0
; VGPRBlocks: 2
; NumSGPRsForWavesPerEU: 19
; NumVGPRsForWavesPerEU: 43
; NamedBarCnt: 0
; Occupancy: 16
; WaveLimiterHint : 0
; COMPUTE_PGM_RSRC2:SCRATCH_EN: 0
; COMPUTE_PGM_RSRC2:USER_SGPR: 2
; COMPUTE_PGM_RSRC2:TRAP_HANDLER: 0
; COMPUTE_PGM_RSRC2:TGID_X_EN: 1
; COMPUTE_PGM_RSRC2:TGID_Y_EN: 1
; COMPUTE_PGM_RSRC2:TGID_Z_EN: 0
; COMPUTE_PGM_RSRC2:TIDIG_COMP_CNT: 0
	.section	.text._ZN9rocsparseL49gtsv_nopivot_strided_batch_pcr_pow2_shared_kernelILj2E21rocsparse_complex_numIdEEEviiiPKT0_S5_S5_PS3_,"axG",@progbits,_ZN9rocsparseL49gtsv_nopivot_strided_batch_pcr_pow2_shared_kernelILj2E21rocsparse_complex_numIdEEEviiiPKT0_S5_S5_PS3_,comdat
	.globl	_ZN9rocsparseL49gtsv_nopivot_strided_batch_pcr_pow2_shared_kernelILj2E21rocsparse_complex_numIdEEEviiiPKT0_S5_S5_PS3_ ; -- Begin function _ZN9rocsparseL49gtsv_nopivot_strided_batch_pcr_pow2_shared_kernelILj2E21rocsparse_complex_numIdEEEviiiPKT0_S5_S5_PS3_
	.p2align	8
	.type	_ZN9rocsparseL49gtsv_nopivot_strided_batch_pcr_pow2_shared_kernelILj2E21rocsparse_complex_numIdEEEviiiPKT0_S5_S5_PS3_,@function
_ZN9rocsparseL49gtsv_nopivot_strided_batch_pcr_pow2_shared_kernelILj2E21rocsparse_complex_numIdEEEviiiPKT0_S5_S5_PS3_: ; @_ZN9rocsparseL49gtsv_nopivot_strided_batch_pcr_pow2_shared_kernelILj2E21rocsparse_complex_numIdEEEviiiPKT0_S5_S5_PS3_
; %bb.0:
	s_load_b32 s2, s[0:1], 0x8
	s_bfe_u32 s3, ttmp6, 0x4000c
	s_load_b256 s[4:11], s[0:1], 0x10
	s_add_co_i32 s3, s3, 1
	s_wait_xcnt 0x0
	s_and_b32 s0, ttmp6, 15
	s_mul_i32 s1, ttmp9, s3
	s_getreg_b32 s3, hwreg(HW_REG_IB_STS2, 6, 4)
	s_add_co_i32 s0, s0, s1
	s_cmp_eq_u32 s3, 0
	v_lshlrev_b32_e32 v2, 4, v0
	s_cselect_b32 s0, ttmp9, s0
	v_cmp_eq_u32_e32 vcc_lo, 0, v0
	s_wait_kmcnt 0x0
	v_mad_u32 v20, s2, s0, v0
	s_clause 0x3
	global_load_b128 v[4:7], v20, s[4:5] scale_offset
	global_load_b128 v[8:11], v20, s[6:7] scale_offset
	;; [unrolled: 1-line block ×4, first 2 shown]
	v_ashrrev_i32_e32 v21, 31, v20
	s_wait_loadcnt 0x3
	ds_store_2addr_b64 v2, v[4:5], v[6:7] offset1:1
	s_wait_loadcnt 0x2
	ds_store_2addr_b64 v2, v[8:9], v[10:11] offset0:6 offset1:7
	s_wait_loadcnt 0x1
	ds_store_2addr_b64 v2, v[12:13], v[14:15] offset0:12 offset1:13
	;; [unrolled: 2-line block ×3, first 2 shown]
	v_lshl_add_u64 v[0:1], v[20:21], 4, s[10:11]
	s_wait_dscnt 0x0
	; wave barrier
	s_and_saveexec_b32 s0, vcc_lo
	s_cbranch_execz .LBB63_2
; %bb.1:
	v_dual_mov_b32 v3, 0 :: v_dual_add_nc_u32 v12, 48, v2
	v_or_b32_e32 v16, 0x60, v2
	v_or_b32_e32 v20, 0xc0, v2
	ds_load_b128 v[4:7], v3 offset:16
	ds_load_b128 v[8:11], v3 offset:64
	ds_load_b128 v[12:15], v12
	ds_load_b128 v[16:19], v16
	;; [unrolled: 1-line block ×3, first 2 shown]
	ds_load_b128 v[24:27], v3 offset:208
	s_wait_dscnt 0x3
	v_mul_f64_e32 v[28:29], v[14:15], v[8:9]
	s_wait_dscnt 0x2
	v_mul_f64_e32 v[30:31], v[6:7], v[16:17]
	v_mul_f64_e64 v[32:33], v[14:15], -v[10:11]
	v_mul_f64_e64 v[34:35], v[6:7], -v[18:19]
	s_wait_dscnt 0x1
	v_mul_f64_e32 v[42:43], v[8:9], v[22:23]
	s_wait_dscnt 0x0
	v_mul_f64_e64 v[44:45], v[26:27], -v[18:19]
	v_mul_f64_e32 v[46:47], v[16:17], v[26:27]
	v_mul_f64_e64 v[48:49], v[14:15], -v[26:27]
	v_mul_f64_e32 v[14:15], v[14:15], v[24:25]
	v_fmac_f64_e32 v[28:29], v[10:11], v[12:13]
	v_fmac_f64_e32 v[30:31], v[18:19], v[4:5]
	;; [unrolled: 1-line block ×9, first 2 shown]
	v_add_f64_e64 v[28:29], v[28:29], -v[30:31]
	v_add_f64_e64 v[30:31], v[32:33], -v[34:35]
	;; [unrolled: 1-line block ×3, first 2 shown]
	s_delay_alu instid0(VALU_DEP_3) | instskip(NEXT) | instid1(VALU_DEP_1)
	v_mul_f64_e32 v[32:33], v[28:29], v[28:29]
	v_fmac_f64_e32 v[32:33], v[30:31], v[30:31]
	s_delay_alu instid0(VALU_DEP_1) | instskip(SKIP_1) | instid1(VALU_DEP_2)
	v_div_scale_f64 v[34:35], null, v[32:33], v[32:33], 1.0
	v_div_scale_f64 v[40:41], vcc_lo, 1.0, v[32:33], 1.0
	v_rcp_f64_e32 v[36:37], v[34:35]
	v_nop
	s_delay_alu instid0(TRANS32_DEP_1) | instskip(NEXT) | instid1(VALU_DEP_1)
	v_fma_f64 v[38:39], -v[34:35], v[36:37], 1.0
	v_fmac_f64_e32 v[36:37], v[36:37], v[38:39]
	s_delay_alu instid0(VALU_DEP_1) | instskip(NEXT) | instid1(VALU_DEP_1)
	v_fma_f64 v[38:39], -v[34:35], v[36:37], 1.0
	v_fmac_f64_e32 v[36:37], v[36:37], v[38:39]
	s_delay_alu instid0(VALU_DEP_1) | instskip(NEXT) | instid1(VALU_DEP_1)
	v_mul_f64_e32 v[38:39], v[40:41], v[36:37]
	v_fma_f64 v[34:35], -v[34:35], v[38:39], v[40:41]
	v_mul_f64_e64 v[40:41], v[22:23], -v[10:11]
	s_delay_alu instid0(VALU_DEP_2) | instskip(SKIP_2) | instid1(VALU_DEP_4)
	v_div_fmas_f64 v[34:35], v[34:35], v[36:37], v[38:39]
	v_mul_f64_e32 v[36:37], v[6:7], v[20:21]
	v_mul_f64_e64 v[6:7], v[6:7], -v[22:23]
	v_fmac_f64_e32 v[40:41], v[8:9], v[20:21]
	v_fma_f64 v[8:9], v[30:31], 0, -v[28:29]
	v_div_fixup_f64 v[10:11], v[34:35], v[32:33], 1.0
	v_fmac_f64_e32 v[36:37], v[22:23], v[4:5]
	v_fmac_f64_e32 v[6:7], v[20:21], v[4:5]
	v_fma_f64 v[4:5], 0, v[28:29], v[30:31]
	v_add_f64_e64 v[18:19], v[40:41], -v[44:45]
	v_mul_f64_e32 v[16:17], v[8:9], v[10:11]
	v_add_f64_e64 v[14:15], v[14:15], -v[36:37]
	v_add_f64_e64 v[20:21], v[48:49], -v[6:7]
	v_mul_f64_e32 v[22:23], v[4:5], v[10:11]
	s_delay_alu instid0(VALU_DEP_4) | instskip(SKIP_3) | instid1(VALU_DEP_4)
	v_mul_f64_e64 v[4:5], v[16:17], -v[12:13]
	v_mul_f64_e32 v[6:7], v[16:17], v[18:19]
	v_mul_f64_e64 v[8:9], v[16:17], -v[14:15]
	v_mul_f64_e32 v[10:11], v[16:17], v[20:21]
	v_fmac_f64_e32 v[4:5], v[18:19], v[22:23]
	s_delay_alu instid0(VALU_DEP_4) | instskip(NEXT) | instid1(VALU_DEP_4)
	v_fmac_f64_e32 v[6:7], v[12:13], v[22:23]
	v_fmac_f64_e32 v[8:9], v[20:21], v[22:23]
	s_delay_alu instid0(VALU_DEP_4)
	v_fmac_f64_e32 v[10:11], v[14:15], v[22:23]
	ds_store_b128 v3, v[4:7] offset:144
	ds_store_b128 v3, v[8:11] offset:160
.LBB63_2:
	s_or_b32 exec_lo, exec_lo, s0
	s_wait_dscnt 0x0
	; wave barrier
	ds_load_2addr_b64 v[2:5], v2 offset0:18 offset1:19
	s_wait_dscnt 0x0
	global_store_b128 v[0:1], v[2:5], off
	s_endpgm
	.section	.rodata,"a",@progbits
	.p2align	6, 0x0
	.amdhsa_kernel _ZN9rocsparseL49gtsv_nopivot_strided_batch_pcr_pow2_shared_kernelILj2E21rocsparse_complex_numIdEEEviiiPKT0_S5_S5_PS3_
		.amdhsa_group_segment_fixed_size 240
		.amdhsa_private_segment_fixed_size 0
		.amdhsa_kernarg_size 48
		.amdhsa_user_sgpr_count 2
		.amdhsa_user_sgpr_dispatch_ptr 0
		.amdhsa_user_sgpr_queue_ptr 0
		.amdhsa_user_sgpr_kernarg_segment_ptr 1
		.amdhsa_user_sgpr_dispatch_id 0
		.amdhsa_user_sgpr_kernarg_preload_length 0
		.amdhsa_user_sgpr_kernarg_preload_offset 0
		.amdhsa_user_sgpr_private_segment_size 0
		.amdhsa_wavefront_size32 1
		.amdhsa_uses_dynamic_stack 0
		.amdhsa_enable_private_segment 0
		.amdhsa_system_sgpr_workgroup_id_x 1
		.amdhsa_system_sgpr_workgroup_id_y 0
		.amdhsa_system_sgpr_workgroup_id_z 0
		.amdhsa_system_sgpr_workgroup_info 0
		.amdhsa_system_vgpr_workitem_id 0
		.amdhsa_next_free_vgpr 50
		.amdhsa_next_free_sgpr 12
		.amdhsa_named_barrier_count 0
		.amdhsa_reserve_vcc 1
		.amdhsa_float_round_mode_32 0
		.amdhsa_float_round_mode_16_64 0
		.amdhsa_float_denorm_mode_32 3
		.amdhsa_float_denorm_mode_16_64 3
		.amdhsa_fp16_overflow 0
		.amdhsa_memory_ordered 1
		.amdhsa_forward_progress 1
		.amdhsa_inst_pref_size 6
		.amdhsa_round_robin_scheduling 0
		.amdhsa_exception_fp_ieee_invalid_op 0
		.amdhsa_exception_fp_denorm_src 0
		.amdhsa_exception_fp_ieee_div_zero 0
		.amdhsa_exception_fp_ieee_overflow 0
		.amdhsa_exception_fp_ieee_underflow 0
		.amdhsa_exception_fp_ieee_inexact 0
		.amdhsa_exception_int_div_zero 0
	.end_amdhsa_kernel
	.section	.text._ZN9rocsparseL49gtsv_nopivot_strided_batch_pcr_pow2_shared_kernelILj2E21rocsparse_complex_numIdEEEviiiPKT0_S5_S5_PS3_,"axG",@progbits,_ZN9rocsparseL49gtsv_nopivot_strided_batch_pcr_pow2_shared_kernelILj2E21rocsparse_complex_numIdEEEviiiPKT0_S5_S5_PS3_,comdat
.Lfunc_end63:
	.size	_ZN9rocsparseL49gtsv_nopivot_strided_batch_pcr_pow2_shared_kernelILj2E21rocsparse_complex_numIdEEEviiiPKT0_S5_S5_PS3_, .Lfunc_end63-_ZN9rocsparseL49gtsv_nopivot_strided_batch_pcr_pow2_shared_kernelILj2E21rocsparse_complex_numIdEEEviiiPKT0_S5_S5_PS3_
                                        ; -- End function
	.set _ZN9rocsparseL49gtsv_nopivot_strided_batch_pcr_pow2_shared_kernelILj2E21rocsparse_complex_numIdEEEviiiPKT0_S5_S5_PS3_.num_vgpr, 50
	.set _ZN9rocsparseL49gtsv_nopivot_strided_batch_pcr_pow2_shared_kernelILj2E21rocsparse_complex_numIdEEEviiiPKT0_S5_S5_PS3_.num_agpr, 0
	.set _ZN9rocsparseL49gtsv_nopivot_strided_batch_pcr_pow2_shared_kernelILj2E21rocsparse_complex_numIdEEEviiiPKT0_S5_S5_PS3_.numbered_sgpr, 12
	.set _ZN9rocsparseL49gtsv_nopivot_strided_batch_pcr_pow2_shared_kernelILj2E21rocsparse_complex_numIdEEEviiiPKT0_S5_S5_PS3_.num_named_barrier, 0
	.set _ZN9rocsparseL49gtsv_nopivot_strided_batch_pcr_pow2_shared_kernelILj2E21rocsparse_complex_numIdEEEviiiPKT0_S5_S5_PS3_.private_seg_size, 0
	.set _ZN9rocsparseL49gtsv_nopivot_strided_batch_pcr_pow2_shared_kernelILj2E21rocsparse_complex_numIdEEEviiiPKT0_S5_S5_PS3_.uses_vcc, 1
	.set _ZN9rocsparseL49gtsv_nopivot_strided_batch_pcr_pow2_shared_kernelILj2E21rocsparse_complex_numIdEEEviiiPKT0_S5_S5_PS3_.uses_flat_scratch, 0
	.set _ZN9rocsparseL49gtsv_nopivot_strided_batch_pcr_pow2_shared_kernelILj2E21rocsparse_complex_numIdEEEviiiPKT0_S5_S5_PS3_.has_dyn_sized_stack, 0
	.set _ZN9rocsparseL49gtsv_nopivot_strided_batch_pcr_pow2_shared_kernelILj2E21rocsparse_complex_numIdEEEviiiPKT0_S5_S5_PS3_.has_recursion, 0
	.set _ZN9rocsparseL49gtsv_nopivot_strided_batch_pcr_pow2_shared_kernelILj2E21rocsparse_complex_numIdEEEviiiPKT0_S5_S5_PS3_.has_indirect_call, 0
	.section	.AMDGPU.csdata,"",@progbits
; Kernel info:
; codeLenInByte = 692
; TotalNumSgprs: 14
; NumVgprs: 50
; ScratchSize: 0
; MemoryBound: 0
; FloatMode: 240
; IeeeMode: 1
; LDSByteSize: 240 bytes/workgroup (compile time only)
; SGPRBlocks: 0
; VGPRBlocks: 3
; NumSGPRsForWavesPerEU: 14
; NumVGPRsForWavesPerEU: 50
; NamedBarCnt: 0
; Occupancy: 16
; WaveLimiterHint : 0
; COMPUTE_PGM_RSRC2:SCRATCH_EN: 0
; COMPUTE_PGM_RSRC2:USER_SGPR: 2
; COMPUTE_PGM_RSRC2:TRAP_HANDLER: 0
; COMPUTE_PGM_RSRC2:TGID_X_EN: 1
; COMPUTE_PGM_RSRC2:TGID_Y_EN: 0
; COMPUTE_PGM_RSRC2:TGID_Z_EN: 0
; COMPUTE_PGM_RSRC2:TIDIG_COMP_CNT: 0
	.section	.text._ZN9rocsparseL49gtsv_nopivot_strided_batch_pcr_pow2_shared_kernelILj4E21rocsparse_complex_numIdEEEviiiPKT0_S5_S5_PS3_,"axG",@progbits,_ZN9rocsparseL49gtsv_nopivot_strided_batch_pcr_pow2_shared_kernelILj4E21rocsparse_complex_numIdEEEviiiPKT0_S5_S5_PS3_,comdat
	.globl	_ZN9rocsparseL49gtsv_nopivot_strided_batch_pcr_pow2_shared_kernelILj4E21rocsparse_complex_numIdEEEviiiPKT0_S5_S5_PS3_ ; -- Begin function _ZN9rocsparseL49gtsv_nopivot_strided_batch_pcr_pow2_shared_kernelILj4E21rocsparse_complex_numIdEEEviiiPKT0_S5_S5_PS3_
	.p2align	8
	.type	_ZN9rocsparseL49gtsv_nopivot_strided_batch_pcr_pow2_shared_kernelILj4E21rocsparse_complex_numIdEEEviiiPKT0_S5_S5_PS3_,@function
_ZN9rocsparseL49gtsv_nopivot_strided_batch_pcr_pow2_shared_kernelILj4E21rocsparse_complex_numIdEEEviiiPKT0_S5_S5_PS3_: ; @_ZN9rocsparseL49gtsv_nopivot_strided_batch_pcr_pow2_shared_kernelILj4E21rocsparse_complex_numIdEEEviiiPKT0_S5_S5_PS3_
; %bb.0:
	s_load_b32 s2, s[0:1], 0x8
	s_bfe_u32 s3, ttmp6, 0x4000c
	s_load_b256 s[4:11], s[0:1], 0x10
	s_add_co_i32 s3, s3, 1
	s_wait_xcnt 0x0
	s_and_b32 s0, ttmp6, 15
	s_mul_i32 s1, ttmp9, s3
	s_getreg_b32 s3, hwreg(HW_REG_IB_STS2, 6, 4)
	s_add_co_i32 s0, s0, s1
	s_cmp_eq_u32 s3, 0
	v_sub_nc_u32_e64 v1, v0, 1 clamp
	s_cselect_b32 s0, ttmp9, s0
	v_lshlrev_b32_e32 v2, 4, v0
	v_min_u32_e32 v3, 2, v0
	s_delay_alu instid0(VALU_DEP_1)
	v_dual_lshlrev_b32 v1, 4, v1 :: v_dual_lshlrev_b32 v3, 4, v3
	s_wait_kmcnt 0x0
	v_mad_u32 v36, s2, s0, v0
	s_clause 0x3
	global_load_b128 v[4:7], v36, s[4:5] scale_offset
	global_load_b128 v[8:11], v36, s[6:7] scale_offset
	;; [unrolled: 1-line block ×4, first 2 shown]
	s_wait_loadcnt 0x3
	ds_store_2addr_b64 v2, v[4:5], v[6:7] offset1:1
	s_wait_loadcnt 0x2
	ds_store_2addr_b64 v2, v[8:9], v[10:11] offset0:10 offset1:11
	s_wait_loadcnt 0x1
	ds_store_2addr_b64 v2, v[12:13], v[14:15] offset0:20 offset1:21
	;; [unrolled: 2-line block ×3, first 2 shown]
	s_wait_dscnt 0x0
	; wave barrier
	ds_load_b128 v[4:7], v1 offset:80
	ds_load_b128 v[8:11], v1
	ds_load_b128 v[12:15], v3 offset:96
	ds_load_b128 v[16:19], v3 offset:16
	s_wait_dscnt 0x3
	v_dual_mul_f64 v[38:39], v[6:7], v[6:7] :: v_dual_ashrrev_i32 v37, 31, v36
	s_wait_dscnt 0x1
	v_mul_f64_e32 v[40:41], v[14:15], v[14:15]
	s_delay_alu instid0(VALU_DEP_2) | instskip(NEXT) | instid1(VALU_DEP_2)
	v_fmac_f64_e32 v[38:39], v[4:5], v[4:5]
	v_fmac_f64_e32 v[40:41], v[12:13], v[12:13]
	s_delay_alu instid0(VALU_DEP_2) | instskip(NEXT) | instid1(VALU_DEP_2)
	v_div_scale_f64 v[20:21], null, v[38:39], v[38:39], 1.0
	v_div_scale_f64 v[28:29], null, v[40:41], v[40:41], 1.0
	v_div_scale_f64 v[26:27], vcc_lo, 1.0, v[38:39], 1.0
	v_div_scale_f64 v[32:33], s0, 1.0, v[40:41], 1.0
	s_delay_alu instid0(VALU_DEP_4) | instskip(NEXT) | instid1(VALU_DEP_3)
	v_rcp_f64_e32 v[30:31], v[20:21]
	v_rcp_f64_e32 v[42:43], v[28:29]
	s_delay_alu instid0(TRANS32_DEP_2) | instskip(NEXT) | instid1(TRANS32_DEP_1)
	v_fma_f64 v[22:23], -v[20:21], v[30:31], 1.0
	v_fma_f64 v[24:25], -v[28:29], v[42:43], 1.0
	s_delay_alu instid0(VALU_DEP_2) | instskip(NEXT) | instid1(VALU_DEP_2)
	v_fmac_f64_e32 v[30:31], v[30:31], v[22:23]
	v_fmac_f64_e32 v[42:43], v[42:43], v[24:25]
	s_delay_alu instid0(VALU_DEP_2) | instskip(NEXT) | instid1(VALU_DEP_2)
	v_fma_f64 v[22:23], -v[20:21], v[30:31], 1.0
	v_fma_f64 v[24:25], -v[28:29], v[42:43], 1.0
	s_delay_alu instid0(VALU_DEP_2) | instskip(NEXT) | instid1(VALU_DEP_2)
	v_fmac_f64_e32 v[30:31], v[30:31], v[22:23]
	v_fmac_f64_e32 v[42:43], v[42:43], v[24:25]
	s_delay_alu instid0(VALU_DEP_2) | instskip(NEXT) | instid1(VALU_DEP_2)
	v_mul_f64_e32 v[34:35], v[26:27], v[30:31]
	v_mul_f64_e32 v[44:45], v[32:33], v[42:43]
	s_delay_alu instid0(VALU_DEP_2)
	v_fma_f64 v[46:47], -v[20:21], v[34:35], v[26:27]
	ds_load_b128 v[20:23], v2
	ds_load_b128 v[24:27], v2 offset:80
	v_fma_f64 v[48:49], -v[28:29], v[44:45], v[32:33]
	s_wait_dscnt 0x1
	v_mul_f64_e64 v[50:51], v[6:7], -v[20:21]
	v_div_fmas_f64 v[46:47], v[46:47], v[30:31], v[34:35]
	ds_load_b128 v[28:31], v2 offset:160
	ds_load_b128 v[32:35], v2 offset:320
	s_mov_b32 vcc_lo, s0
	v_div_fmas_f64 v[42:43], v[48:49], v[42:43], v[44:45]
	v_mul_f64_e32 v[44:45], v[6:7], v[22:23]
	v_cmp_gt_u32_e32 vcc_lo, 2, v0
	s_wait_dscnt 0x1
	v_mul_f64_e64 v[52:53], v[14:15], -v[28:29]
	v_fmac_f64_e32 v[50:51], v[22:23], v[4:5]
	v_div_fixup_f64 v[38:39], v[46:47], v[38:39], 1.0
	v_mul_f64_e32 v[46:47], v[14:15], v[30:31]
	v_div_fixup_f64 v[40:41], v[42:43], v[40:41], 1.0
	v_fmac_f64_e32 v[44:45], v[20:21], v[4:5]
	ds_load_b128 v[4:7], v1 offset:160
	ds_load_b128 v[20:23], v1 offset:320
	v_lshl_add_u64 v[0:1], v[36:37], 4, s[10:11]
	v_fmac_f64_e32 v[52:53], v[30:31], v[12:13]
	v_mul_f64_e32 v[42:43], v[38:39], v[50:51]
	v_fmac_f64_e32 v[46:47], v[28:29], v[12:13]
	ds_load_b128 v[12:15], v3 offset:336
	ds_load_b128 v[28:31], v3 offset:176
	s_wait_dscnt 0x0
	; wave barrier
	v_mul_f64_e32 v[38:39], v[38:39], v[44:45]
	v_mul_f64_e32 v[48:49], v[40:41], v[52:53]
	v_mul_f64_e64 v[44:45], v[42:43], -v[6:7]
	v_mul_f64_e32 v[50:51], v[42:43], v[4:5]
	v_mul_f64_e64 v[52:53], v[42:43], -v[22:23]
	v_mul_f64_e32 v[54:55], v[42:43], v[20:21]
	v_mul_f64_e32 v[40:41], v[40:41], v[46:47]
	v_mul_f64_e64 v[46:47], v[48:49], -v[18:19]
	v_mul_f64_e32 v[56:57], v[48:49], v[16:17]
	v_mul_f64_e64 v[58:59], v[48:49], -v[14:15]
	v_mul_f64_e32 v[60:61], v[48:49], v[12:13]
	v_fmac_f64_e32 v[44:45], v[4:5], v[38:39]
	v_fmac_f64_e32 v[50:51], v[6:7], v[38:39]
	;; [unrolled: 1-line block ×4, first 2 shown]
	v_mul_f64_e32 v[4:5], v[42:43], v[10:11]
	v_mul_f64_e64 v[6:7], v[42:43], -v[8:9]
	v_mul_f64_e32 v[20:21], v[48:49], v[30:31]
	v_mul_f64_e64 v[22:23], v[48:49], -v[28:29]
	v_fmac_f64_e32 v[46:47], v[16:17], v[40:41]
	v_fmac_f64_e32 v[56:57], v[18:19], v[40:41]
	v_fmac_f64_e32 v[58:59], v[12:13], v[40:41]
	v_fmac_f64_e32 v[60:61], v[14:15], v[40:41]
	v_add_f64_e64 v[12:13], v[24:25], -v[44:45]
	v_add_f64_e64 v[14:15], v[26:27], -v[50:51]
	;; [unrolled: 1-line block ×4, first 2 shown]
	v_fma_f64 v[4:5], -v[8:9], v[38:39], v[4:5]
	v_fma_f64 v[6:7], -v[10:11], v[38:39], v[6:7]
	;; [unrolled: 1-line block ×4, first 2 shown]
	v_add_f64_e64 v[12:13], v[12:13], -v[46:47]
	v_add_f64_e64 v[14:15], v[14:15], -v[56:57]
	;; [unrolled: 1-line block ×4, first 2 shown]
	ds_store_b128 v2, v[12:15] offset:80
	ds_store_b128 v2, v[4:7]
	ds_store_b128 v2, v[16:19] offset:320
	ds_store_b128 v2, v[8:11] offset:160
	s_wait_dscnt 0x0
	; wave barrier
	s_and_saveexec_b32 s0, vcc_lo
	s_cbranch_execz .LBB64_2
; %bb.1:
	v_add_nc_u32_e32 v3, 0x50, v2
	v_add_nc_u32_e32 v16, 0xa0, v2
	ds_load_b128 v[4:7], v3
	ds_load_b128 v[8:11], v2 offset:32
	ds_load_b128 v[12:15], v3 offset:32
	ds_load_b128 v[16:19], v16
	v_or_b32_e32 v3, 0x140, v2
	s_wait_dscnt 0x1
	v_mul_f64_e32 v[20:21], v[6:7], v[12:13]
	s_wait_dscnt 0x0
	v_mul_f64_e32 v[22:23], v[10:11], v[16:17]
	v_mul_f64_e64 v[24:25], v[6:7], -v[14:15]
	v_mul_f64_e64 v[26:27], v[10:11], -v[18:19]
	s_delay_alu instid0(VALU_DEP_4) | instskip(NEXT) | instid1(VALU_DEP_4)
	v_fmac_f64_e32 v[20:21], v[14:15], v[4:5]
	v_fmac_f64_e32 v[22:23], v[18:19], v[8:9]
	s_delay_alu instid0(VALU_DEP_4) | instskip(NEXT) | instid1(VALU_DEP_4)
	v_fmac_f64_e32 v[24:25], v[12:13], v[4:5]
	v_fmac_f64_e32 v[26:27], v[16:17], v[8:9]
	s_delay_alu instid0(VALU_DEP_3) | instskip(NEXT) | instid1(VALU_DEP_2)
	v_add_f64_e64 v[28:29], v[20:21], -v[22:23]
	v_add_f64_e64 v[30:31], v[24:25], -v[26:27]
	s_delay_alu instid0(VALU_DEP_2) | instskip(NEXT) | instid1(VALU_DEP_1)
	v_mul_f64_e32 v[32:33], v[28:29], v[28:29]
	v_fmac_f64_e32 v[32:33], v[30:31], v[30:31]
	s_delay_alu instid0(VALU_DEP_1) | instskip(SKIP_1) | instid1(VALU_DEP_2)
	v_div_scale_f64 v[20:21], null, v[32:33], v[32:33], 1.0
	v_div_scale_f64 v[24:25], vcc_lo, 1.0, v[32:33], 1.0
	v_rcp_f64_e32 v[34:35], v[20:21]
	v_nop
	s_delay_alu instid0(TRANS32_DEP_1) | instskip(NEXT) | instid1(VALU_DEP_1)
	v_fma_f64 v[22:23], -v[20:21], v[34:35], 1.0
	v_fmac_f64_e32 v[34:35], v[34:35], v[22:23]
	s_delay_alu instid0(VALU_DEP_1) | instskip(NEXT) | instid1(VALU_DEP_1)
	v_fma_f64 v[22:23], -v[20:21], v[34:35], 1.0
	v_fmac_f64_e32 v[34:35], v[34:35], v[22:23]
	s_delay_alu instid0(VALU_DEP_1) | instskip(NEXT) | instid1(VALU_DEP_1)
	v_mul_f64_e32 v[36:37], v[24:25], v[34:35]
	v_fma_f64 v[38:39], -v[20:21], v[36:37], v[24:25]
	ds_load_b128 v[20:23], v3
	ds_load_b128 v[24:27], v3 offset:32
	s_wait_dscnt 0x1
	v_mul_f64_e64 v[40:41], v[22:23], -v[14:15]
	v_mul_f64_e32 v[42:43], v[12:13], v[22:23]
	s_wait_dscnt 0x0
	v_mul_f64_e64 v[44:45], v[26:27], -v[18:19]
	v_mul_f64_e32 v[46:47], v[16:17], v[26:27]
	v_mul_f64_e64 v[48:49], v[6:7], -v[26:27]
	v_mul_f64_e32 v[6:7], v[6:7], v[24:25]
	v_div_fmas_f64 v[34:35], v[38:39], v[34:35], v[36:37]
	v_mul_f64_e32 v[36:37], v[10:11], v[20:21]
	v_mul_f64_e64 v[10:11], v[10:11], -v[22:23]
	v_fmac_f64_e32 v[40:41], v[12:13], v[20:21]
	v_fmac_f64_e32 v[42:43], v[14:15], v[20:21]
	;; [unrolled: 1-line block ×4, first 2 shown]
	v_fma_f64 v[12:13], v[30:31], 0, -v[28:29]
	v_fmac_f64_e32 v[48:49], v[24:25], v[4:5]
	v_fmac_f64_e32 v[6:7], v[26:27], v[4:5]
	v_fma_f64 v[4:5], 0, v[28:29], v[30:31]
	v_div_fixup_f64 v[14:15], v[34:35], v[32:33], 1.0
	v_fmac_f64_e32 v[36:37], v[22:23], v[8:9]
	v_fmac_f64_e32 v[10:11], v[20:21], v[8:9]
	v_add_f64_e64 v[18:19], v[40:41], -v[44:45]
	v_add_f64_e64 v[16:17], v[42:43], -v[46:47]
	v_mul_f64_e32 v[12:13], v[12:13], v[14:15]
	v_add_f64_e64 v[20:21], v[6:7], -v[36:37]
	v_add_f64_e64 v[22:23], v[48:49], -v[10:11]
	v_mul_f64_e32 v[14:15], v[4:5], v[14:15]
	s_delay_alu instid0(VALU_DEP_4) | instskip(SKIP_3) | instid1(VALU_DEP_4)
	v_mul_f64_e64 v[4:5], v[12:13], -v[16:17]
	v_mul_f64_e32 v[6:7], v[12:13], v[18:19]
	v_mul_f64_e64 v[8:9], v[12:13], -v[20:21]
	v_mul_f64_e32 v[10:11], v[12:13], v[22:23]
	v_fmac_f64_e32 v[4:5], v[18:19], v[14:15]
	s_delay_alu instid0(VALU_DEP_4) | instskip(NEXT) | instid1(VALU_DEP_4)
	v_fmac_f64_e32 v[6:7], v[16:17], v[14:15]
	v_fmac_f64_e32 v[8:9], v[22:23], v[14:15]
	s_delay_alu instid0(VALU_DEP_4)
	v_fmac_f64_e32 v[10:11], v[20:21], v[14:15]
	ds_store_b128 v2, v[4:7] offset:240
	ds_store_b128 v2, v[8:11] offset:272
.LBB64_2:
	s_or_b32 exec_lo, exec_lo, s0
	s_wait_dscnt 0x0
	; wave barrier
	ds_load_2addr_b64 v[2:5], v2 offset0:30 offset1:31
	s_wait_dscnt 0x0
	global_store_b128 v[0:1], v[2:5], off
	s_endpgm
	.section	.rodata,"a",@progbits
	.p2align	6, 0x0
	.amdhsa_kernel _ZN9rocsparseL49gtsv_nopivot_strided_batch_pcr_pow2_shared_kernelILj4E21rocsparse_complex_numIdEEEviiiPKT0_S5_S5_PS3_
		.amdhsa_group_segment_fixed_size 400
		.amdhsa_private_segment_fixed_size 0
		.amdhsa_kernarg_size 48
		.amdhsa_user_sgpr_count 2
		.amdhsa_user_sgpr_dispatch_ptr 0
		.amdhsa_user_sgpr_queue_ptr 0
		.amdhsa_user_sgpr_kernarg_segment_ptr 1
		.amdhsa_user_sgpr_dispatch_id 0
		.amdhsa_user_sgpr_kernarg_preload_length 0
		.amdhsa_user_sgpr_kernarg_preload_offset 0
		.amdhsa_user_sgpr_private_segment_size 0
		.amdhsa_wavefront_size32 1
		.amdhsa_uses_dynamic_stack 0
		.amdhsa_enable_private_segment 0
		.amdhsa_system_sgpr_workgroup_id_x 1
		.amdhsa_system_sgpr_workgroup_id_y 0
		.amdhsa_system_sgpr_workgroup_id_z 0
		.amdhsa_system_sgpr_workgroup_info 0
		.amdhsa_system_vgpr_workitem_id 0
		.amdhsa_next_free_vgpr 62
		.amdhsa_next_free_sgpr 12
		.amdhsa_named_barrier_count 0
		.amdhsa_reserve_vcc 1
		.amdhsa_float_round_mode_32 0
		.amdhsa_float_round_mode_16_64 0
		.amdhsa_float_denorm_mode_32 3
		.amdhsa_float_denorm_mode_16_64 3
		.amdhsa_fp16_overflow 0
		.amdhsa_memory_ordered 1
		.amdhsa_forward_progress 1
		.amdhsa_inst_pref_size 11
		.amdhsa_round_robin_scheduling 0
		.amdhsa_exception_fp_ieee_invalid_op 0
		.amdhsa_exception_fp_denorm_src 0
		.amdhsa_exception_fp_ieee_div_zero 0
		.amdhsa_exception_fp_ieee_overflow 0
		.amdhsa_exception_fp_ieee_underflow 0
		.amdhsa_exception_fp_ieee_inexact 0
		.amdhsa_exception_int_div_zero 0
	.end_amdhsa_kernel
	.section	.text._ZN9rocsparseL49gtsv_nopivot_strided_batch_pcr_pow2_shared_kernelILj4E21rocsparse_complex_numIdEEEviiiPKT0_S5_S5_PS3_,"axG",@progbits,_ZN9rocsparseL49gtsv_nopivot_strided_batch_pcr_pow2_shared_kernelILj4E21rocsparse_complex_numIdEEEviiiPKT0_S5_S5_PS3_,comdat
.Lfunc_end64:
	.size	_ZN9rocsparseL49gtsv_nopivot_strided_batch_pcr_pow2_shared_kernelILj4E21rocsparse_complex_numIdEEEviiiPKT0_S5_S5_PS3_, .Lfunc_end64-_ZN9rocsparseL49gtsv_nopivot_strided_batch_pcr_pow2_shared_kernelILj4E21rocsparse_complex_numIdEEEviiiPKT0_S5_S5_PS3_
                                        ; -- End function
	.set _ZN9rocsparseL49gtsv_nopivot_strided_batch_pcr_pow2_shared_kernelILj4E21rocsparse_complex_numIdEEEviiiPKT0_S5_S5_PS3_.num_vgpr, 62
	.set _ZN9rocsparseL49gtsv_nopivot_strided_batch_pcr_pow2_shared_kernelILj4E21rocsparse_complex_numIdEEEviiiPKT0_S5_S5_PS3_.num_agpr, 0
	.set _ZN9rocsparseL49gtsv_nopivot_strided_batch_pcr_pow2_shared_kernelILj4E21rocsparse_complex_numIdEEEviiiPKT0_S5_S5_PS3_.numbered_sgpr, 12
	.set _ZN9rocsparseL49gtsv_nopivot_strided_batch_pcr_pow2_shared_kernelILj4E21rocsparse_complex_numIdEEEviiiPKT0_S5_S5_PS3_.num_named_barrier, 0
	.set _ZN9rocsparseL49gtsv_nopivot_strided_batch_pcr_pow2_shared_kernelILj4E21rocsparse_complex_numIdEEEviiiPKT0_S5_S5_PS3_.private_seg_size, 0
	.set _ZN9rocsparseL49gtsv_nopivot_strided_batch_pcr_pow2_shared_kernelILj4E21rocsparse_complex_numIdEEEviiiPKT0_S5_S5_PS3_.uses_vcc, 1
	.set _ZN9rocsparseL49gtsv_nopivot_strided_batch_pcr_pow2_shared_kernelILj4E21rocsparse_complex_numIdEEEviiiPKT0_S5_S5_PS3_.uses_flat_scratch, 0
	.set _ZN9rocsparseL49gtsv_nopivot_strided_batch_pcr_pow2_shared_kernelILj4E21rocsparse_complex_numIdEEEviiiPKT0_S5_S5_PS3_.has_dyn_sized_stack, 0
	.set _ZN9rocsparseL49gtsv_nopivot_strided_batch_pcr_pow2_shared_kernelILj4E21rocsparse_complex_numIdEEEviiiPKT0_S5_S5_PS3_.has_recursion, 0
	.set _ZN9rocsparseL49gtsv_nopivot_strided_batch_pcr_pow2_shared_kernelILj4E21rocsparse_complex_numIdEEEviiiPKT0_S5_S5_PS3_.has_indirect_call, 0
	.section	.AMDGPU.csdata,"",@progbits
; Kernel info:
; codeLenInByte = 1340
; TotalNumSgprs: 14
; NumVgprs: 62
; ScratchSize: 0
; MemoryBound: 0
; FloatMode: 240
; IeeeMode: 1
; LDSByteSize: 400 bytes/workgroup (compile time only)
; SGPRBlocks: 0
; VGPRBlocks: 3
; NumSGPRsForWavesPerEU: 14
; NumVGPRsForWavesPerEU: 62
; NamedBarCnt: 0
; Occupancy: 16
; WaveLimiterHint : 0
; COMPUTE_PGM_RSRC2:SCRATCH_EN: 0
; COMPUTE_PGM_RSRC2:USER_SGPR: 2
; COMPUTE_PGM_RSRC2:TRAP_HANDLER: 0
; COMPUTE_PGM_RSRC2:TGID_X_EN: 1
; COMPUTE_PGM_RSRC2:TGID_Y_EN: 0
; COMPUTE_PGM_RSRC2:TGID_Z_EN: 0
; COMPUTE_PGM_RSRC2:TIDIG_COMP_CNT: 0
	.section	.text._ZN9rocsparseL49gtsv_nopivot_strided_batch_pcr_pow2_shared_kernelILj8E21rocsparse_complex_numIdEEEviiiPKT0_S5_S5_PS3_,"axG",@progbits,_ZN9rocsparseL49gtsv_nopivot_strided_batch_pcr_pow2_shared_kernelILj8E21rocsparse_complex_numIdEEEviiiPKT0_S5_S5_PS3_,comdat
	.globl	_ZN9rocsparseL49gtsv_nopivot_strided_batch_pcr_pow2_shared_kernelILj8E21rocsparse_complex_numIdEEEviiiPKT0_S5_S5_PS3_ ; -- Begin function _ZN9rocsparseL49gtsv_nopivot_strided_batch_pcr_pow2_shared_kernelILj8E21rocsparse_complex_numIdEEEviiiPKT0_S5_S5_PS3_
	.p2align	8
	.type	_ZN9rocsparseL49gtsv_nopivot_strided_batch_pcr_pow2_shared_kernelILj8E21rocsparse_complex_numIdEEEviiiPKT0_S5_S5_PS3_,@function
_ZN9rocsparseL49gtsv_nopivot_strided_batch_pcr_pow2_shared_kernelILj8E21rocsparse_complex_numIdEEEviiiPKT0_S5_S5_PS3_: ; @_ZN9rocsparseL49gtsv_nopivot_strided_batch_pcr_pow2_shared_kernelILj8E21rocsparse_complex_numIdEEEviiiPKT0_S5_S5_PS3_
; %bb.0:
	s_load_b32 s2, s[0:1], 0x8
	s_bfe_u32 s3, ttmp6, 0x4000c
	s_load_b256 s[4:11], s[0:1], 0x10
	s_add_co_i32 s3, s3, 1
	s_wait_xcnt 0x0
	s_and_b32 s0, ttmp6, 15
	s_mul_i32 s1, ttmp9, s3
	s_getreg_b32 s3, hwreg(HW_REG_IB_STS2, 6, 4)
	s_add_co_i32 s0, s0, s1
	s_cmp_eq_u32 s3, 0
	v_sub_nc_u32_e64 v1, v0, 1 clamp
	s_cselect_b32 s0, ttmp9, s0
	v_lshlrev_b32_e32 v2, 4, v0
	v_min_u32_e32 v3, 6, v0
	s_delay_alu instid0(VALU_DEP_1)
	v_dual_lshlrev_b32 v1, 4, v1 :: v_dual_lshlrev_b32 v3, 4, v3
	s_wait_kmcnt 0x0
	v_mad_u32 v36, s2, s0, v0
	s_clause 0x3
	global_load_b128 v[4:7], v36, s[4:5] scale_offset
	global_load_b128 v[8:11], v36, s[6:7] scale_offset
	;; [unrolled: 1-line block ×4, first 2 shown]
	s_wait_loadcnt 0x3
	ds_store_2addr_b64 v2, v[4:5], v[6:7] offset1:1
	s_wait_loadcnt 0x2
	ds_store_2addr_b64 v2, v[8:9], v[10:11] offset0:18 offset1:19
	s_wait_loadcnt 0x1
	ds_store_2addr_b64 v2, v[12:13], v[14:15] offset0:36 offset1:37
	;; [unrolled: 2-line block ×3, first 2 shown]
	s_wait_dscnt 0x0
	; wave barrier
	ds_load_b128 v[4:7], v1 offset:144
	ds_load_b128 v[8:11], v1
	ds_load_b128 v[12:15], v3 offset:160
	ds_load_b128 v[16:19], v3 offset:16
	s_wait_dscnt 0x3
	v_dual_mul_f64 v[38:39], v[6:7], v[6:7] :: v_dual_ashrrev_i32 v37, 31, v36
	s_wait_dscnt 0x1
	v_mul_f64_e32 v[40:41], v[14:15], v[14:15]
	s_delay_alu instid0(VALU_DEP_2) | instskip(NEXT) | instid1(VALU_DEP_2)
	v_fmac_f64_e32 v[38:39], v[4:5], v[4:5]
	v_fmac_f64_e32 v[40:41], v[12:13], v[12:13]
	s_delay_alu instid0(VALU_DEP_2) | instskip(NEXT) | instid1(VALU_DEP_2)
	v_div_scale_f64 v[20:21], null, v[38:39], v[38:39], 1.0
	v_div_scale_f64 v[28:29], null, v[40:41], v[40:41], 1.0
	v_div_scale_f64 v[26:27], vcc_lo, 1.0, v[38:39], 1.0
	v_div_scale_f64 v[32:33], s0, 1.0, v[40:41], 1.0
	s_delay_alu instid0(VALU_DEP_4) | instskip(NEXT) | instid1(VALU_DEP_3)
	v_rcp_f64_e32 v[30:31], v[20:21]
	v_rcp_f64_e32 v[42:43], v[28:29]
	s_delay_alu instid0(TRANS32_DEP_2) | instskip(NEXT) | instid1(TRANS32_DEP_1)
	v_fma_f64 v[22:23], -v[20:21], v[30:31], 1.0
	v_fma_f64 v[24:25], -v[28:29], v[42:43], 1.0
	s_delay_alu instid0(VALU_DEP_2) | instskip(NEXT) | instid1(VALU_DEP_2)
	v_fmac_f64_e32 v[30:31], v[30:31], v[22:23]
	v_fmac_f64_e32 v[42:43], v[42:43], v[24:25]
	s_delay_alu instid0(VALU_DEP_2) | instskip(NEXT) | instid1(VALU_DEP_2)
	v_fma_f64 v[22:23], -v[20:21], v[30:31], 1.0
	v_fma_f64 v[24:25], -v[28:29], v[42:43], 1.0
	s_delay_alu instid0(VALU_DEP_2) | instskip(NEXT) | instid1(VALU_DEP_2)
	v_fmac_f64_e32 v[30:31], v[30:31], v[22:23]
	v_fmac_f64_e32 v[42:43], v[42:43], v[24:25]
	s_delay_alu instid0(VALU_DEP_2) | instskip(NEXT) | instid1(VALU_DEP_2)
	v_mul_f64_e32 v[34:35], v[26:27], v[30:31]
	v_mul_f64_e32 v[44:45], v[32:33], v[42:43]
	s_delay_alu instid0(VALU_DEP_2)
	v_fma_f64 v[46:47], -v[20:21], v[34:35], v[26:27]
	ds_load_b128 v[20:23], v2
	ds_load_b128 v[24:27], v2 offset:144
	v_fma_f64 v[48:49], -v[28:29], v[44:45], v[32:33]
	s_wait_dscnt 0x1
	v_mul_f64_e64 v[50:51], v[6:7], -v[20:21]
	v_div_fmas_f64 v[46:47], v[46:47], v[30:31], v[34:35]
	ds_load_b128 v[28:31], v2 offset:288
	ds_load_b128 v[32:35], v2 offset:576
	s_mov_b32 vcc_lo, s0
	v_div_fmas_f64 v[42:43], v[48:49], v[42:43], v[44:45]
	v_mul_f64_e32 v[44:45], v[6:7], v[22:23]
	s_wait_dscnt 0x1
	v_mul_f64_e64 v[52:53], v[14:15], -v[28:29]
	v_fmac_f64_e32 v[50:51], v[22:23], v[4:5]
	v_div_fixup_f64 v[38:39], v[46:47], v[38:39], 1.0
	v_mul_f64_e32 v[46:47], v[14:15], v[30:31]
	v_div_fixup_f64 v[40:41], v[42:43], v[40:41], 1.0
	v_fmac_f64_e32 v[44:45], v[20:21], v[4:5]
	ds_load_b128 v[4:7], v1 offset:288
	ds_load_b128 v[20:23], v1 offset:576
	v_sub_nc_u32_e64 v1, v0, 2 clamp
	s_delay_alu instid0(VALU_DEP_1)
	v_lshlrev_b32_e32 v1, 4, v1
	v_fmac_f64_e32 v[52:53], v[30:31], v[12:13]
	v_mul_f64_e32 v[42:43], v[38:39], v[50:51]
	v_fmac_f64_e32 v[46:47], v[28:29], v[12:13]
	ds_load_b128 v[12:15], v3 offset:592
	ds_load_b128 v[28:31], v3 offset:304
	s_wait_dscnt 0x0
	; wave barrier
	v_mul_f64_e32 v[38:39], v[38:39], v[44:45]
	v_min_u32_e32 v3, 5, v0
	s_delay_alu instid0(VALU_DEP_1)
	v_dual_mul_f64 v[48:49], v[40:41], v[52:53] :: v_dual_lshlrev_b32 v3, 4, v3
	v_mul_f64_e64 v[44:45], v[42:43], -v[6:7]
	v_mul_f64_e32 v[50:51], v[42:43], v[4:5]
	v_mul_f64_e64 v[52:53], v[42:43], -v[22:23]
	v_mul_f64_e32 v[54:55], v[42:43], v[20:21]
	v_mul_f64_e32 v[40:41], v[40:41], v[46:47]
	v_mul_f64_e64 v[46:47], v[48:49], -v[18:19]
	v_mul_f64_e32 v[56:57], v[48:49], v[16:17]
	v_mul_f64_e64 v[58:59], v[48:49], -v[14:15]
	v_mul_f64_e32 v[60:61], v[48:49], v[12:13]
	v_fmac_f64_e32 v[44:45], v[4:5], v[38:39]
	v_fmac_f64_e32 v[50:51], v[6:7], v[38:39]
	;; [unrolled: 1-line block ×4, first 2 shown]
	v_mul_f64_e32 v[4:5], v[42:43], v[10:11]
	v_mul_f64_e64 v[6:7], v[42:43], -v[8:9]
	v_mul_f64_e32 v[20:21], v[48:49], v[30:31]
	v_mul_f64_e64 v[22:23], v[48:49], -v[28:29]
	v_fmac_f64_e32 v[46:47], v[16:17], v[40:41]
	v_fmac_f64_e32 v[56:57], v[18:19], v[40:41]
	;; [unrolled: 1-line block ×4, first 2 shown]
	v_add_f64_e64 v[12:13], v[24:25], -v[44:45]
	v_add_f64_e64 v[14:15], v[26:27], -v[50:51]
	;; [unrolled: 1-line block ×4, first 2 shown]
	v_fma_f64 v[4:5], -v[8:9], v[38:39], v[4:5]
	v_fma_f64 v[6:7], -v[10:11], v[38:39], v[6:7]
	;; [unrolled: 1-line block ×4, first 2 shown]
	v_add_f64_e64 v[12:13], v[12:13], -v[46:47]
	v_add_f64_e64 v[14:15], v[14:15], -v[56:57]
	;; [unrolled: 1-line block ×4, first 2 shown]
	ds_store_b128 v2, v[12:15] offset:144
	ds_store_b128 v2, v[4:7]
	ds_store_b128 v2, v[16:19] offset:576
	ds_store_b128 v2, v[8:11] offset:288
	s_wait_dscnt 0x0
	; wave barrier
	ds_load_b128 v[4:7], v1 offset:144
	ds_load_b128 v[8:11], v1
	ds_load_b128 v[12:15], v3 offset:176
	ds_load_b128 v[16:19], v3 offset:32
	s_wait_dscnt 0x3
	v_mul_f64_e32 v[38:39], v[6:7], v[6:7]
	s_wait_dscnt 0x1
	v_mul_f64_e32 v[40:41], v[14:15], v[14:15]
	s_delay_alu instid0(VALU_DEP_2) | instskip(NEXT) | instid1(VALU_DEP_2)
	v_fmac_f64_e32 v[38:39], v[4:5], v[4:5]
	v_fmac_f64_e32 v[40:41], v[12:13], v[12:13]
	s_delay_alu instid0(VALU_DEP_2) | instskip(NEXT) | instid1(VALU_DEP_2)
	v_div_scale_f64 v[20:21], null, v[38:39], v[38:39], 1.0
	v_div_scale_f64 v[28:29], null, v[40:41], v[40:41], 1.0
	v_div_scale_f64 v[26:27], vcc_lo, 1.0, v[38:39], 1.0
	v_div_scale_f64 v[32:33], s0, 1.0, v[40:41], 1.0
	s_delay_alu instid0(VALU_DEP_4) | instskip(NEXT) | instid1(VALU_DEP_3)
	v_rcp_f64_e32 v[30:31], v[20:21]
	v_rcp_f64_e32 v[42:43], v[28:29]
	s_delay_alu instid0(TRANS32_DEP_2) | instskip(NEXT) | instid1(TRANS32_DEP_1)
	v_fma_f64 v[22:23], -v[20:21], v[30:31], 1.0
	v_fma_f64 v[24:25], -v[28:29], v[42:43], 1.0
	s_delay_alu instid0(VALU_DEP_2) | instskip(NEXT) | instid1(VALU_DEP_2)
	v_fmac_f64_e32 v[30:31], v[30:31], v[22:23]
	v_fmac_f64_e32 v[42:43], v[42:43], v[24:25]
	s_delay_alu instid0(VALU_DEP_2) | instskip(NEXT) | instid1(VALU_DEP_2)
	v_fma_f64 v[22:23], -v[20:21], v[30:31], 1.0
	v_fma_f64 v[24:25], -v[28:29], v[42:43], 1.0
	s_delay_alu instid0(VALU_DEP_2) | instskip(NEXT) | instid1(VALU_DEP_2)
	v_fmac_f64_e32 v[30:31], v[30:31], v[22:23]
	v_fmac_f64_e32 v[42:43], v[42:43], v[24:25]
	s_delay_alu instid0(VALU_DEP_2) | instskip(NEXT) | instid1(VALU_DEP_2)
	v_mul_f64_e32 v[34:35], v[26:27], v[30:31]
	v_mul_f64_e32 v[44:45], v[32:33], v[42:43]
	s_delay_alu instid0(VALU_DEP_2)
	v_fma_f64 v[46:47], -v[20:21], v[34:35], v[26:27]
	ds_load_b128 v[20:23], v2
	ds_load_b128 v[24:27], v2 offset:144
	v_fma_f64 v[48:49], -v[28:29], v[44:45], v[32:33]
	s_wait_dscnt 0x1
	v_mul_f64_e64 v[50:51], v[6:7], -v[20:21]
	v_div_fmas_f64 v[46:47], v[46:47], v[30:31], v[34:35]
	ds_load_b128 v[28:31], v2 offset:288
	ds_load_b128 v[32:35], v2 offset:576
	s_mov_b32 vcc_lo, s0
	v_div_fmas_f64 v[42:43], v[48:49], v[42:43], v[44:45]
	v_mul_f64_e32 v[44:45], v[6:7], v[22:23]
	v_cmp_gt_u32_e32 vcc_lo, 4, v0
	s_wait_dscnt 0x1
	v_mul_f64_e64 v[52:53], v[14:15], -v[28:29]
	v_fmac_f64_e32 v[50:51], v[22:23], v[4:5]
	v_div_fixup_f64 v[38:39], v[46:47], v[38:39], 1.0
	v_mul_f64_e32 v[46:47], v[14:15], v[30:31]
	v_div_fixup_f64 v[40:41], v[42:43], v[40:41], 1.0
	v_fmac_f64_e32 v[44:45], v[20:21], v[4:5]
	ds_load_b128 v[4:7], v1 offset:288
	ds_load_b128 v[20:23], v1 offset:576
	v_lshl_add_u64 v[0:1], v[36:37], 4, s[10:11]
	v_fmac_f64_e32 v[52:53], v[30:31], v[12:13]
	v_mul_f64_e32 v[42:43], v[38:39], v[50:51]
	v_fmac_f64_e32 v[46:47], v[28:29], v[12:13]
	ds_load_b128 v[12:15], v3 offset:608
	ds_load_b128 v[28:31], v3 offset:320
	s_wait_dscnt 0x0
	; wave barrier
	v_mul_f64_e32 v[38:39], v[38:39], v[44:45]
	v_mul_f64_e32 v[48:49], v[40:41], v[52:53]
	v_mul_f64_e64 v[44:45], v[42:43], -v[6:7]
	v_mul_f64_e32 v[50:51], v[42:43], v[4:5]
	v_mul_f64_e64 v[52:53], v[42:43], -v[22:23]
	v_mul_f64_e32 v[54:55], v[42:43], v[20:21]
	v_mul_f64_e32 v[40:41], v[40:41], v[46:47]
	v_mul_f64_e64 v[46:47], v[48:49], -v[18:19]
	v_mul_f64_e32 v[56:57], v[48:49], v[16:17]
	v_mul_f64_e64 v[58:59], v[48:49], -v[14:15]
	v_mul_f64_e32 v[60:61], v[48:49], v[12:13]
	v_fmac_f64_e32 v[44:45], v[4:5], v[38:39]
	v_fmac_f64_e32 v[50:51], v[6:7], v[38:39]
	;; [unrolled: 1-line block ×4, first 2 shown]
	v_mul_f64_e32 v[4:5], v[42:43], v[10:11]
	v_mul_f64_e64 v[6:7], v[42:43], -v[8:9]
	v_mul_f64_e32 v[20:21], v[48:49], v[30:31]
	v_mul_f64_e64 v[22:23], v[48:49], -v[28:29]
	v_fmac_f64_e32 v[46:47], v[16:17], v[40:41]
	v_fmac_f64_e32 v[56:57], v[18:19], v[40:41]
	;; [unrolled: 1-line block ×4, first 2 shown]
	v_add_f64_e64 v[12:13], v[24:25], -v[44:45]
	v_add_f64_e64 v[14:15], v[26:27], -v[50:51]
	;; [unrolled: 1-line block ×4, first 2 shown]
	v_fma_f64 v[4:5], -v[8:9], v[38:39], v[4:5]
	v_fma_f64 v[6:7], -v[10:11], v[38:39], v[6:7]
	;; [unrolled: 1-line block ×4, first 2 shown]
	v_add_f64_e64 v[12:13], v[12:13], -v[46:47]
	v_add_f64_e64 v[14:15], v[14:15], -v[56:57]
	;; [unrolled: 1-line block ×4, first 2 shown]
	ds_store_b128 v2, v[12:15] offset:144
	ds_store_b128 v2, v[4:7]
	ds_store_b128 v2, v[16:19] offset:576
	ds_store_b128 v2, v[8:11] offset:288
	s_wait_dscnt 0x0
	; wave barrier
	s_and_saveexec_b32 s0, vcc_lo
	s_cbranch_execz .LBB65_2
; %bb.1:
	v_add_nc_u32_e32 v3, 0x90, v2
	v_add_nc_u32_e32 v16, 0x120, v2
	ds_load_b128 v[4:7], v3
	ds_load_b128 v[8:11], v2 offset:64
	ds_load_b128 v[12:15], v3 offset:64
	ds_load_b128 v[16:19], v16
	v_add_nc_u32_e32 v3, 0x240, v2
	s_wait_dscnt 0x1
	v_mul_f64_e32 v[20:21], v[6:7], v[12:13]
	s_wait_dscnt 0x0
	v_mul_f64_e32 v[22:23], v[10:11], v[16:17]
	v_mul_f64_e64 v[24:25], v[6:7], -v[14:15]
	v_mul_f64_e64 v[26:27], v[10:11], -v[18:19]
	s_delay_alu instid0(VALU_DEP_4) | instskip(NEXT) | instid1(VALU_DEP_4)
	v_fmac_f64_e32 v[20:21], v[14:15], v[4:5]
	v_fmac_f64_e32 v[22:23], v[18:19], v[8:9]
	s_delay_alu instid0(VALU_DEP_4) | instskip(NEXT) | instid1(VALU_DEP_4)
	v_fmac_f64_e32 v[24:25], v[12:13], v[4:5]
	v_fmac_f64_e32 v[26:27], v[16:17], v[8:9]
	s_delay_alu instid0(VALU_DEP_3) | instskip(NEXT) | instid1(VALU_DEP_2)
	v_add_f64_e64 v[28:29], v[20:21], -v[22:23]
	v_add_f64_e64 v[30:31], v[24:25], -v[26:27]
	s_delay_alu instid0(VALU_DEP_2) | instskip(NEXT) | instid1(VALU_DEP_1)
	v_mul_f64_e32 v[32:33], v[28:29], v[28:29]
	v_fmac_f64_e32 v[32:33], v[30:31], v[30:31]
	s_delay_alu instid0(VALU_DEP_1) | instskip(SKIP_1) | instid1(VALU_DEP_2)
	v_div_scale_f64 v[20:21], null, v[32:33], v[32:33], 1.0
	v_div_scale_f64 v[24:25], vcc_lo, 1.0, v[32:33], 1.0
	v_rcp_f64_e32 v[34:35], v[20:21]
	v_nop
	s_delay_alu instid0(TRANS32_DEP_1) | instskip(NEXT) | instid1(VALU_DEP_1)
	v_fma_f64 v[22:23], -v[20:21], v[34:35], 1.0
	v_fmac_f64_e32 v[34:35], v[34:35], v[22:23]
	s_delay_alu instid0(VALU_DEP_1) | instskip(NEXT) | instid1(VALU_DEP_1)
	v_fma_f64 v[22:23], -v[20:21], v[34:35], 1.0
	v_fmac_f64_e32 v[34:35], v[34:35], v[22:23]
	s_delay_alu instid0(VALU_DEP_1) | instskip(NEXT) | instid1(VALU_DEP_1)
	v_mul_f64_e32 v[36:37], v[24:25], v[34:35]
	v_fma_f64 v[38:39], -v[20:21], v[36:37], v[24:25]
	ds_load_b128 v[20:23], v3
	ds_load_b128 v[24:27], v3 offset:64
	s_wait_dscnt 0x1
	v_mul_f64_e64 v[40:41], v[22:23], -v[14:15]
	v_mul_f64_e32 v[42:43], v[12:13], v[22:23]
	s_wait_dscnt 0x0
	v_mul_f64_e64 v[44:45], v[26:27], -v[18:19]
	v_mul_f64_e32 v[46:47], v[16:17], v[26:27]
	v_mul_f64_e64 v[48:49], v[6:7], -v[26:27]
	v_mul_f64_e32 v[6:7], v[6:7], v[24:25]
	v_div_fmas_f64 v[34:35], v[38:39], v[34:35], v[36:37]
	v_mul_f64_e32 v[36:37], v[10:11], v[20:21]
	v_mul_f64_e64 v[10:11], v[10:11], -v[22:23]
	v_fmac_f64_e32 v[40:41], v[12:13], v[20:21]
	v_fmac_f64_e32 v[42:43], v[14:15], v[20:21]
	v_fmac_f64_e32 v[44:45], v[16:17], v[24:25]
	v_fmac_f64_e32 v[46:47], v[18:19], v[24:25]
	v_fma_f64 v[12:13], v[30:31], 0, -v[28:29]
	v_fmac_f64_e32 v[48:49], v[24:25], v[4:5]
	v_fmac_f64_e32 v[6:7], v[26:27], v[4:5]
	v_fma_f64 v[4:5], 0, v[28:29], v[30:31]
	v_div_fixup_f64 v[14:15], v[34:35], v[32:33], 1.0
	v_fmac_f64_e32 v[36:37], v[22:23], v[8:9]
	v_fmac_f64_e32 v[10:11], v[20:21], v[8:9]
	v_add_f64_e64 v[18:19], v[40:41], -v[44:45]
	v_add_f64_e64 v[16:17], v[42:43], -v[46:47]
	v_mul_f64_e32 v[12:13], v[12:13], v[14:15]
	v_add_f64_e64 v[20:21], v[6:7], -v[36:37]
	v_add_f64_e64 v[22:23], v[48:49], -v[10:11]
	v_mul_f64_e32 v[14:15], v[4:5], v[14:15]
	s_delay_alu instid0(VALU_DEP_4) | instskip(SKIP_3) | instid1(VALU_DEP_4)
	v_mul_f64_e64 v[4:5], v[12:13], -v[16:17]
	v_mul_f64_e32 v[6:7], v[12:13], v[18:19]
	v_mul_f64_e64 v[8:9], v[12:13], -v[20:21]
	v_mul_f64_e32 v[10:11], v[12:13], v[22:23]
	v_fmac_f64_e32 v[4:5], v[18:19], v[14:15]
	s_delay_alu instid0(VALU_DEP_4) | instskip(NEXT) | instid1(VALU_DEP_4)
	v_fmac_f64_e32 v[6:7], v[16:17], v[14:15]
	v_fmac_f64_e32 v[8:9], v[22:23], v[14:15]
	s_delay_alu instid0(VALU_DEP_4)
	v_fmac_f64_e32 v[10:11], v[20:21], v[14:15]
	ds_store_b128 v2, v[4:7] offset:432
	ds_store_b128 v2, v[8:11] offset:496
.LBB65_2:
	s_or_b32 exec_lo, exec_lo, s0
	s_wait_dscnt 0x0
	; wave barrier
	ds_load_2addr_b64 v[2:5], v2 offset0:54 offset1:55
	s_wait_dscnt 0x0
	global_store_b128 v[0:1], v[2:5], off
	s_endpgm
	.section	.rodata,"a",@progbits
	.p2align	6, 0x0
	.amdhsa_kernel _ZN9rocsparseL49gtsv_nopivot_strided_batch_pcr_pow2_shared_kernelILj8E21rocsparse_complex_numIdEEEviiiPKT0_S5_S5_PS3_
		.amdhsa_group_segment_fixed_size 720
		.amdhsa_private_segment_fixed_size 0
		.amdhsa_kernarg_size 48
		.amdhsa_user_sgpr_count 2
		.amdhsa_user_sgpr_dispatch_ptr 0
		.amdhsa_user_sgpr_queue_ptr 0
		.amdhsa_user_sgpr_kernarg_segment_ptr 1
		.amdhsa_user_sgpr_dispatch_id 0
		.amdhsa_user_sgpr_kernarg_preload_length 0
		.amdhsa_user_sgpr_kernarg_preload_offset 0
		.amdhsa_user_sgpr_private_segment_size 0
		.amdhsa_wavefront_size32 1
		.amdhsa_uses_dynamic_stack 0
		.amdhsa_enable_private_segment 0
		.amdhsa_system_sgpr_workgroup_id_x 1
		.amdhsa_system_sgpr_workgroup_id_y 0
		.amdhsa_system_sgpr_workgroup_id_z 0
		.amdhsa_system_sgpr_workgroup_info 0
		.amdhsa_system_vgpr_workitem_id 0
		.amdhsa_next_free_vgpr 62
		.amdhsa_next_free_sgpr 12
		.amdhsa_named_barrier_count 0
		.amdhsa_reserve_vcc 1
		.amdhsa_float_round_mode_32 0
		.amdhsa_float_round_mode_16_64 0
		.amdhsa_float_denorm_mode_32 3
		.amdhsa_float_denorm_mode_16_64 3
		.amdhsa_fp16_overflow 0
		.amdhsa_memory_ordered 1
		.amdhsa_forward_progress 1
		.amdhsa_inst_pref_size 16
		.amdhsa_round_robin_scheduling 0
		.amdhsa_exception_fp_ieee_invalid_op 0
		.amdhsa_exception_fp_denorm_src 0
		.amdhsa_exception_fp_ieee_div_zero 0
		.amdhsa_exception_fp_ieee_overflow 0
		.amdhsa_exception_fp_ieee_underflow 0
		.amdhsa_exception_fp_ieee_inexact 0
		.amdhsa_exception_int_div_zero 0
	.end_amdhsa_kernel
	.section	.text._ZN9rocsparseL49gtsv_nopivot_strided_batch_pcr_pow2_shared_kernelILj8E21rocsparse_complex_numIdEEEviiiPKT0_S5_S5_PS3_,"axG",@progbits,_ZN9rocsparseL49gtsv_nopivot_strided_batch_pcr_pow2_shared_kernelILj8E21rocsparse_complex_numIdEEEviiiPKT0_S5_S5_PS3_,comdat
.Lfunc_end65:
	.size	_ZN9rocsparseL49gtsv_nopivot_strided_batch_pcr_pow2_shared_kernelILj8E21rocsparse_complex_numIdEEEviiiPKT0_S5_S5_PS3_, .Lfunc_end65-_ZN9rocsparseL49gtsv_nopivot_strided_batch_pcr_pow2_shared_kernelILj8E21rocsparse_complex_numIdEEEviiiPKT0_S5_S5_PS3_
                                        ; -- End function
	.set _ZN9rocsparseL49gtsv_nopivot_strided_batch_pcr_pow2_shared_kernelILj8E21rocsparse_complex_numIdEEEviiiPKT0_S5_S5_PS3_.num_vgpr, 62
	.set _ZN9rocsparseL49gtsv_nopivot_strided_batch_pcr_pow2_shared_kernelILj8E21rocsparse_complex_numIdEEEviiiPKT0_S5_S5_PS3_.num_agpr, 0
	.set _ZN9rocsparseL49gtsv_nopivot_strided_batch_pcr_pow2_shared_kernelILj8E21rocsparse_complex_numIdEEEviiiPKT0_S5_S5_PS3_.numbered_sgpr, 12
	.set _ZN9rocsparseL49gtsv_nopivot_strided_batch_pcr_pow2_shared_kernelILj8E21rocsparse_complex_numIdEEEviiiPKT0_S5_S5_PS3_.num_named_barrier, 0
	.set _ZN9rocsparseL49gtsv_nopivot_strided_batch_pcr_pow2_shared_kernelILj8E21rocsparse_complex_numIdEEEviiiPKT0_S5_S5_PS3_.private_seg_size, 0
	.set _ZN9rocsparseL49gtsv_nopivot_strided_batch_pcr_pow2_shared_kernelILj8E21rocsparse_complex_numIdEEEviiiPKT0_S5_S5_PS3_.uses_vcc, 1
	.set _ZN9rocsparseL49gtsv_nopivot_strided_batch_pcr_pow2_shared_kernelILj8E21rocsparse_complex_numIdEEEviiiPKT0_S5_S5_PS3_.uses_flat_scratch, 0
	.set _ZN9rocsparseL49gtsv_nopivot_strided_batch_pcr_pow2_shared_kernelILj8E21rocsparse_complex_numIdEEEviiiPKT0_S5_S5_PS3_.has_dyn_sized_stack, 0
	.set _ZN9rocsparseL49gtsv_nopivot_strided_batch_pcr_pow2_shared_kernelILj8E21rocsparse_complex_numIdEEEviiiPKT0_S5_S5_PS3_.has_recursion, 0
	.set _ZN9rocsparseL49gtsv_nopivot_strided_batch_pcr_pow2_shared_kernelILj8E21rocsparse_complex_numIdEEEviiiPKT0_S5_S5_PS3_.has_indirect_call, 0
	.section	.AMDGPU.csdata,"",@progbits
; Kernel info:
; codeLenInByte = 1980
; TotalNumSgprs: 14
; NumVgprs: 62
; ScratchSize: 0
; MemoryBound: 0
; FloatMode: 240
; IeeeMode: 1
; LDSByteSize: 720 bytes/workgroup (compile time only)
; SGPRBlocks: 0
; VGPRBlocks: 3
; NumSGPRsForWavesPerEU: 14
; NumVGPRsForWavesPerEU: 62
; NamedBarCnt: 0
; Occupancy: 16
; WaveLimiterHint : 0
; COMPUTE_PGM_RSRC2:SCRATCH_EN: 0
; COMPUTE_PGM_RSRC2:USER_SGPR: 2
; COMPUTE_PGM_RSRC2:TRAP_HANDLER: 0
; COMPUTE_PGM_RSRC2:TGID_X_EN: 1
; COMPUTE_PGM_RSRC2:TGID_Y_EN: 0
; COMPUTE_PGM_RSRC2:TGID_Z_EN: 0
; COMPUTE_PGM_RSRC2:TIDIG_COMP_CNT: 0
	.section	.text._ZN9rocsparseL49gtsv_nopivot_strided_batch_pcr_pow2_shared_kernelILj16E21rocsparse_complex_numIdEEEviiiPKT0_S5_S5_PS3_,"axG",@progbits,_ZN9rocsparseL49gtsv_nopivot_strided_batch_pcr_pow2_shared_kernelILj16E21rocsparse_complex_numIdEEEviiiPKT0_S5_S5_PS3_,comdat
	.globl	_ZN9rocsparseL49gtsv_nopivot_strided_batch_pcr_pow2_shared_kernelILj16E21rocsparse_complex_numIdEEEviiiPKT0_S5_S5_PS3_ ; -- Begin function _ZN9rocsparseL49gtsv_nopivot_strided_batch_pcr_pow2_shared_kernelILj16E21rocsparse_complex_numIdEEEviiiPKT0_S5_S5_PS3_
	.p2align	8
	.type	_ZN9rocsparseL49gtsv_nopivot_strided_batch_pcr_pow2_shared_kernelILj16E21rocsparse_complex_numIdEEEviiiPKT0_S5_S5_PS3_,@function
_ZN9rocsparseL49gtsv_nopivot_strided_batch_pcr_pow2_shared_kernelILj16E21rocsparse_complex_numIdEEEviiiPKT0_S5_S5_PS3_: ; @_ZN9rocsparseL49gtsv_nopivot_strided_batch_pcr_pow2_shared_kernelILj16E21rocsparse_complex_numIdEEEviiiPKT0_S5_S5_PS3_
; %bb.0:
	s_load_b32 s2, s[0:1], 0x8
	s_bfe_u32 s3, ttmp6, 0x4000c
	s_load_b256 s[4:11], s[0:1], 0x10
	s_add_co_i32 s3, s3, 1
	s_wait_xcnt 0x0
	s_and_b32 s0, ttmp6, 15
	s_mul_i32 s1, ttmp9, s3
	s_getreg_b32 s3, hwreg(HW_REG_IB_STS2, 6, 4)
	s_add_co_i32 s0, s0, s1
	s_cmp_eq_u32 s3, 0
	v_sub_nc_u32_e64 v1, v0, 1 clamp
	s_cselect_b32 s0, ttmp9, s0
	v_lshlrev_b32_e32 v2, 4, v0
	v_min_u32_e32 v3, 14, v0
	s_delay_alu instid0(VALU_DEP_1)
	v_dual_lshlrev_b32 v1, 4, v1 :: v_dual_lshlrev_b32 v3, 4, v3
	s_wait_kmcnt 0x0
	v_mad_u32 v36, s2, s0, v0
	s_clause 0x3
	global_load_b128 v[4:7], v36, s[4:5] scale_offset
	global_load_b128 v[8:11], v36, s[6:7] scale_offset
	;; [unrolled: 1-line block ×4, first 2 shown]
	s_wait_loadcnt 0x3
	ds_store_2addr_b64 v2, v[4:5], v[6:7] offset1:1
	s_wait_loadcnt 0x2
	ds_store_2addr_b64 v2, v[8:9], v[10:11] offset0:34 offset1:35
	s_wait_loadcnt 0x1
	ds_store_2addr_b64 v2, v[12:13], v[14:15] offset0:68 offset1:69
	;; [unrolled: 2-line block ×3, first 2 shown]
	s_wait_dscnt 0x0
	; wave barrier
	ds_load_b128 v[4:7], v1 offset:272
	ds_load_b128 v[8:11], v1
	ds_load_b128 v[12:15], v3 offset:288
	ds_load_b128 v[16:19], v3 offset:16
	s_wait_dscnt 0x3
	v_dual_mul_f64 v[38:39], v[6:7], v[6:7] :: v_dual_ashrrev_i32 v37, 31, v36
	s_wait_dscnt 0x1
	v_mul_f64_e32 v[40:41], v[14:15], v[14:15]
	s_delay_alu instid0(VALU_DEP_2) | instskip(NEXT) | instid1(VALU_DEP_2)
	v_fmac_f64_e32 v[38:39], v[4:5], v[4:5]
	v_fmac_f64_e32 v[40:41], v[12:13], v[12:13]
	s_delay_alu instid0(VALU_DEP_2) | instskip(NEXT) | instid1(VALU_DEP_2)
	v_div_scale_f64 v[20:21], null, v[38:39], v[38:39], 1.0
	v_div_scale_f64 v[28:29], null, v[40:41], v[40:41], 1.0
	v_div_scale_f64 v[26:27], vcc_lo, 1.0, v[38:39], 1.0
	v_div_scale_f64 v[32:33], s0, 1.0, v[40:41], 1.0
	s_delay_alu instid0(VALU_DEP_4) | instskip(NEXT) | instid1(VALU_DEP_3)
	v_rcp_f64_e32 v[30:31], v[20:21]
	v_rcp_f64_e32 v[42:43], v[28:29]
	s_delay_alu instid0(TRANS32_DEP_2) | instskip(NEXT) | instid1(TRANS32_DEP_1)
	v_fma_f64 v[22:23], -v[20:21], v[30:31], 1.0
	v_fma_f64 v[24:25], -v[28:29], v[42:43], 1.0
	s_delay_alu instid0(VALU_DEP_2) | instskip(NEXT) | instid1(VALU_DEP_2)
	v_fmac_f64_e32 v[30:31], v[30:31], v[22:23]
	v_fmac_f64_e32 v[42:43], v[42:43], v[24:25]
	s_delay_alu instid0(VALU_DEP_2) | instskip(NEXT) | instid1(VALU_DEP_2)
	v_fma_f64 v[22:23], -v[20:21], v[30:31], 1.0
	v_fma_f64 v[24:25], -v[28:29], v[42:43], 1.0
	s_delay_alu instid0(VALU_DEP_2) | instskip(NEXT) | instid1(VALU_DEP_2)
	v_fmac_f64_e32 v[30:31], v[30:31], v[22:23]
	v_fmac_f64_e32 v[42:43], v[42:43], v[24:25]
	s_delay_alu instid0(VALU_DEP_2) | instskip(NEXT) | instid1(VALU_DEP_2)
	v_mul_f64_e32 v[34:35], v[26:27], v[30:31]
	v_mul_f64_e32 v[44:45], v[32:33], v[42:43]
	s_delay_alu instid0(VALU_DEP_2)
	v_fma_f64 v[46:47], -v[20:21], v[34:35], v[26:27]
	ds_load_b128 v[20:23], v2
	ds_load_b128 v[24:27], v2 offset:272
	v_fma_f64 v[48:49], -v[28:29], v[44:45], v[32:33]
	s_wait_dscnt 0x1
	v_mul_f64_e64 v[50:51], v[6:7], -v[20:21]
	v_div_fmas_f64 v[46:47], v[46:47], v[30:31], v[34:35]
	ds_load_b128 v[28:31], v2 offset:544
	ds_load_b128 v[32:35], v2 offset:1088
	s_mov_b32 vcc_lo, s0
	v_div_fmas_f64 v[42:43], v[48:49], v[42:43], v[44:45]
	v_mul_f64_e32 v[44:45], v[6:7], v[22:23]
	s_wait_dscnt 0x1
	v_mul_f64_e64 v[52:53], v[14:15], -v[28:29]
	v_fmac_f64_e32 v[50:51], v[22:23], v[4:5]
	v_div_fixup_f64 v[38:39], v[46:47], v[38:39], 1.0
	v_mul_f64_e32 v[46:47], v[14:15], v[30:31]
	v_div_fixup_f64 v[40:41], v[42:43], v[40:41], 1.0
	v_fmac_f64_e32 v[44:45], v[20:21], v[4:5]
	ds_load_b128 v[4:7], v1 offset:544
	ds_load_b128 v[20:23], v1 offset:1088
	v_sub_nc_u32_e64 v1, v0, 2 clamp
	s_delay_alu instid0(VALU_DEP_1)
	v_lshlrev_b32_e32 v1, 4, v1
	v_fmac_f64_e32 v[52:53], v[30:31], v[12:13]
	v_mul_f64_e32 v[42:43], v[38:39], v[50:51]
	v_fmac_f64_e32 v[46:47], v[28:29], v[12:13]
	ds_load_b128 v[12:15], v3 offset:1104
	ds_load_b128 v[28:31], v3 offset:560
	s_wait_dscnt 0x0
	; wave barrier
	v_mul_f64_e32 v[38:39], v[38:39], v[44:45]
	v_min_u32_e32 v3, 13, v0
	s_delay_alu instid0(VALU_DEP_1)
	v_dual_mul_f64 v[48:49], v[40:41], v[52:53] :: v_dual_lshlrev_b32 v3, 4, v3
	v_mul_f64_e64 v[44:45], v[42:43], -v[6:7]
	v_mul_f64_e32 v[50:51], v[42:43], v[4:5]
	v_mul_f64_e64 v[52:53], v[42:43], -v[22:23]
	v_mul_f64_e32 v[54:55], v[42:43], v[20:21]
	v_mul_f64_e32 v[40:41], v[40:41], v[46:47]
	v_mul_f64_e64 v[46:47], v[48:49], -v[18:19]
	v_mul_f64_e32 v[56:57], v[48:49], v[16:17]
	v_mul_f64_e64 v[58:59], v[48:49], -v[14:15]
	v_mul_f64_e32 v[60:61], v[48:49], v[12:13]
	v_fmac_f64_e32 v[44:45], v[4:5], v[38:39]
	v_fmac_f64_e32 v[50:51], v[6:7], v[38:39]
	;; [unrolled: 1-line block ×4, first 2 shown]
	v_mul_f64_e32 v[4:5], v[42:43], v[10:11]
	v_mul_f64_e64 v[6:7], v[42:43], -v[8:9]
	v_mul_f64_e32 v[20:21], v[48:49], v[30:31]
	v_mul_f64_e64 v[22:23], v[48:49], -v[28:29]
	v_fmac_f64_e32 v[46:47], v[16:17], v[40:41]
	v_fmac_f64_e32 v[56:57], v[18:19], v[40:41]
	;; [unrolled: 1-line block ×4, first 2 shown]
	v_add_f64_e64 v[12:13], v[24:25], -v[44:45]
	v_add_f64_e64 v[14:15], v[26:27], -v[50:51]
	;; [unrolled: 1-line block ×4, first 2 shown]
	v_fma_f64 v[4:5], -v[8:9], v[38:39], v[4:5]
	v_fma_f64 v[6:7], -v[10:11], v[38:39], v[6:7]
	;; [unrolled: 1-line block ×4, first 2 shown]
	v_add_f64_e64 v[12:13], v[12:13], -v[46:47]
	v_add_f64_e64 v[14:15], v[14:15], -v[56:57]
	v_add_f64_e64 v[16:17], v[16:17], -v[58:59]
	v_add_f64_e64 v[18:19], v[18:19], -v[60:61]
	ds_store_b128 v2, v[12:15] offset:272
	ds_store_b128 v2, v[4:7]
	ds_store_b128 v2, v[16:19] offset:1088
	ds_store_b128 v2, v[8:11] offset:544
	s_wait_dscnt 0x0
	; wave barrier
	ds_load_b128 v[4:7], v1 offset:272
	ds_load_b128 v[8:11], v1
	ds_load_b128 v[12:15], v3 offset:304
	ds_load_b128 v[16:19], v3 offset:32
	s_wait_dscnt 0x3
	v_mul_f64_e32 v[38:39], v[6:7], v[6:7]
	s_wait_dscnt 0x1
	v_mul_f64_e32 v[40:41], v[14:15], v[14:15]
	s_delay_alu instid0(VALU_DEP_2) | instskip(NEXT) | instid1(VALU_DEP_2)
	v_fmac_f64_e32 v[38:39], v[4:5], v[4:5]
	v_fmac_f64_e32 v[40:41], v[12:13], v[12:13]
	s_delay_alu instid0(VALU_DEP_2) | instskip(NEXT) | instid1(VALU_DEP_2)
	v_div_scale_f64 v[20:21], null, v[38:39], v[38:39], 1.0
	v_div_scale_f64 v[28:29], null, v[40:41], v[40:41], 1.0
	v_div_scale_f64 v[26:27], vcc_lo, 1.0, v[38:39], 1.0
	v_div_scale_f64 v[32:33], s0, 1.0, v[40:41], 1.0
	s_delay_alu instid0(VALU_DEP_4) | instskip(NEXT) | instid1(VALU_DEP_3)
	v_rcp_f64_e32 v[30:31], v[20:21]
	v_rcp_f64_e32 v[42:43], v[28:29]
	s_delay_alu instid0(TRANS32_DEP_2) | instskip(NEXT) | instid1(TRANS32_DEP_1)
	v_fma_f64 v[22:23], -v[20:21], v[30:31], 1.0
	v_fma_f64 v[24:25], -v[28:29], v[42:43], 1.0
	s_delay_alu instid0(VALU_DEP_2) | instskip(NEXT) | instid1(VALU_DEP_2)
	v_fmac_f64_e32 v[30:31], v[30:31], v[22:23]
	v_fmac_f64_e32 v[42:43], v[42:43], v[24:25]
	s_delay_alu instid0(VALU_DEP_2) | instskip(NEXT) | instid1(VALU_DEP_2)
	v_fma_f64 v[22:23], -v[20:21], v[30:31], 1.0
	v_fma_f64 v[24:25], -v[28:29], v[42:43], 1.0
	s_delay_alu instid0(VALU_DEP_2) | instskip(NEXT) | instid1(VALU_DEP_2)
	v_fmac_f64_e32 v[30:31], v[30:31], v[22:23]
	v_fmac_f64_e32 v[42:43], v[42:43], v[24:25]
	s_delay_alu instid0(VALU_DEP_2) | instskip(NEXT) | instid1(VALU_DEP_2)
	v_mul_f64_e32 v[34:35], v[26:27], v[30:31]
	v_mul_f64_e32 v[44:45], v[32:33], v[42:43]
	s_delay_alu instid0(VALU_DEP_2)
	v_fma_f64 v[46:47], -v[20:21], v[34:35], v[26:27]
	ds_load_b128 v[20:23], v2
	ds_load_b128 v[24:27], v2 offset:272
	v_fma_f64 v[48:49], -v[28:29], v[44:45], v[32:33]
	s_wait_dscnt 0x1
	v_mul_f64_e64 v[50:51], v[6:7], -v[20:21]
	v_div_fmas_f64 v[46:47], v[46:47], v[30:31], v[34:35]
	ds_load_b128 v[28:31], v2 offset:544
	ds_load_b128 v[32:35], v2 offset:1088
	s_mov_b32 vcc_lo, s0
	v_div_fmas_f64 v[42:43], v[48:49], v[42:43], v[44:45]
	v_mul_f64_e32 v[44:45], v[6:7], v[22:23]
	s_wait_dscnt 0x1
	v_mul_f64_e64 v[52:53], v[14:15], -v[28:29]
	v_fmac_f64_e32 v[50:51], v[22:23], v[4:5]
	v_div_fixup_f64 v[38:39], v[46:47], v[38:39], 1.0
	v_mul_f64_e32 v[46:47], v[14:15], v[30:31]
	v_div_fixup_f64 v[40:41], v[42:43], v[40:41], 1.0
	v_fmac_f64_e32 v[44:45], v[20:21], v[4:5]
	ds_load_b128 v[4:7], v1 offset:544
	ds_load_b128 v[20:23], v1 offset:1088
	v_sub_nc_u32_e64 v1, v0, 4 clamp
	s_delay_alu instid0(VALU_DEP_1)
	v_lshlrev_b32_e32 v1, 4, v1
	v_fmac_f64_e32 v[52:53], v[30:31], v[12:13]
	v_mul_f64_e32 v[42:43], v[38:39], v[50:51]
	v_fmac_f64_e32 v[46:47], v[28:29], v[12:13]
	ds_load_b128 v[12:15], v3 offset:1120
	ds_load_b128 v[28:31], v3 offset:576
	s_wait_dscnt 0x0
	; wave barrier
	v_mul_f64_e32 v[38:39], v[38:39], v[44:45]
	v_min_u32_e32 v3, 11, v0
	s_delay_alu instid0(VALU_DEP_1)
	v_dual_mul_f64 v[48:49], v[40:41], v[52:53] :: v_dual_lshlrev_b32 v3, 4, v3
	v_mul_f64_e64 v[44:45], v[42:43], -v[6:7]
	v_mul_f64_e32 v[50:51], v[42:43], v[4:5]
	v_mul_f64_e64 v[52:53], v[42:43], -v[22:23]
	v_mul_f64_e32 v[54:55], v[42:43], v[20:21]
	v_mul_f64_e32 v[40:41], v[40:41], v[46:47]
	v_mul_f64_e64 v[46:47], v[48:49], -v[18:19]
	v_mul_f64_e32 v[56:57], v[48:49], v[16:17]
	v_mul_f64_e64 v[58:59], v[48:49], -v[14:15]
	v_mul_f64_e32 v[60:61], v[48:49], v[12:13]
	v_fmac_f64_e32 v[44:45], v[4:5], v[38:39]
	v_fmac_f64_e32 v[50:51], v[6:7], v[38:39]
	;; [unrolled: 1-line block ×4, first 2 shown]
	v_mul_f64_e32 v[4:5], v[42:43], v[10:11]
	v_mul_f64_e64 v[6:7], v[42:43], -v[8:9]
	v_mul_f64_e32 v[20:21], v[48:49], v[30:31]
	v_mul_f64_e64 v[22:23], v[48:49], -v[28:29]
	v_fmac_f64_e32 v[46:47], v[16:17], v[40:41]
	v_fmac_f64_e32 v[56:57], v[18:19], v[40:41]
	;; [unrolled: 1-line block ×4, first 2 shown]
	v_add_f64_e64 v[12:13], v[24:25], -v[44:45]
	v_add_f64_e64 v[14:15], v[26:27], -v[50:51]
	;; [unrolled: 1-line block ×4, first 2 shown]
	v_fma_f64 v[4:5], -v[8:9], v[38:39], v[4:5]
	v_fma_f64 v[6:7], -v[10:11], v[38:39], v[6:7]
	;; [unrolled: 1-line block ×4, first 2 shown]
	v_add_f64_e64 v[12:13], v[12:13], -v[46:47]
	v_add_f64_e64 v[14:15], v[14:15], -v[56:57]
	;; [unrolled: 1-line block ×4, first 2 shown]
	ds_store_b128 v2, v[12:15] offset:272
	ds_store_b128 v2, v[4:7]
	ds_store_b128 v2, v[16:19] offset:1088
	ds_store_b128 v2, v[8:11] offset:544
	s_wait_dscnt 0x0
	; wave barrier
	ds_load_b128 v[4:7], v1 offset:272
	ds_load_b128 v[8:11], v1
	ds_load_b128 v[12:15], v3 offset:336
	ds_load_b128 v[16:19], v3 offset:64
	s_wait_dscnt 0x3
	v_mul_f64_e32 v[38:39], v[6:7], v[6:7]
	s_wait_dscnt 0x1
	v_mul_f64_e32 v[40:41], v[14:15], v[14:15]
	s_delay_alu instid0(VALU_DEP_2) | instskip(NEXT) | instid1(VALU_DEP_2)
	v_fmac_f64_e32 v[38:39], v[4:5], v[4:5]
	v_fmac_f64_e32 v[40:41], v[12:13], v[12:13]
	s_delay_alu instid0(VALU_DEP_2) | instskip(NEXT) | instid1(VALU_DEP_2)
	v_div_scale_f64 v[20:21], null, v[38:39], v[38:39], 1.0
	v_div_scale_f64 v[28:29], null, v[40:41], v[40:41], 1.0
	v_div_scale_f64 v[26:27], vcc_lo, 1.0, v[38:39], 1.0
	v_div_scale_f64 v[32:33], s0, 1.0, v[40:41], 1.0
	s_delay_alu instid0(VALU_DEP_4) | instskip(NEXT) | instid1(VALU_DEP_3)
	v_rcp_f64_e32 v[30:31], v[20:21]
	v_rcp_f64_e32 v[42:43], v[28:29]
	s_delay_alu instid0(TRANS32_DEP_2) | instskip(NEXT) | instid1(TRANS32_DEP_1)
	v_fma_f64 v[22:23], -v[20:21], v[30:31], 1.0
	v_fma_f64 v[24:25], -v[28:29], v[42:43], 1.0
	s_delay_alu instid0(VALU_DEP_2) | instskip(NEXT) | instid1(VALU_DEP_2)
	v_fmac_f64_e32 v[30:31], v[30:31], v[22:23]
	v_fmac_f64_e32 v[42:43], v[42:43], v[24:25]
	s_delay_alu instid0(VALU_DEP_2) | instskip(NEXT) | instid1(VALU_DEP_2)
	v_fma_f64 v[22:23], -v[20:21], v[30:31], 1.0
	v_fma_f64 v[24:25], -v[28:29], v[42:43], 1.0
	s_delay_alu instid0(VALU_DEP_2) | instskip(NEXT) | instid1(VALU_DEP_2)
	v_fmac_f64_e32 v[30:31], v[30:31], v[22:23]
	v_fmac_f64_e32 v[42:43], v[42:43], v[24:25]
	s_delay_alu instid0(VALU_DEP_2) | instskip(NEXT) | instid1(VALU_DEP_2)
	v_mul_f64_e32 v[34:35], v[26:27], v[30:31]
	v_mul_f64_e32 v[44:45], v[32:33], v[42:43]
	s_delay_alu instid0(VALU_DEP_2)
	v_fma_f64 v[46:47], -v[20:21], v[34:35], v[26:27]
	ds_load_b128 v[20:23], v2
	ds_load_b128 v[24:27], v2 offset:272
	v_fma_f64 v[48:49], -v[28:29], v[44:45], v[32:33]
	s_wait_dscnt 0x1
	v_mul_f64_e64 v[50:51], v[6:7], -v[20:21]
	v_div_fmas_f64 v[46:47], v[46:47], v[30:31], v[34:35]
	ds_load_b128 v[28:31], v2 offset:544
	ds_load_b128 v[32:35], v2 offset:1088
	s_mov_b32 vcc_lo, s0
	v_div_fmas_f64 v[42:43], v[48:49], v[42:43], v[44:45]
	v_mul_f64_e32 v[44:45], v[6:7], v[22:23]
	v_cmp_gt_u32_e32 vcc_lo, 8, v0
	s_wait_dscnt 0x1
	v_mul_f64_e64 v[52:53], v[14:15], -v[28:29]
	v_fmac_f64_e32 v[50:51], v[22:23], v[4:5]
	v_div_fixup_f64 v[38:39], v[46:47], v[38:39], 1.0
	v_mul_f64_e32 v[46:47], v[14:15], v[30:31]
	v_div_fixup_f64 v[40:41], v[42:43], v[40:41], 1.0
	v_fmac_f64_e32 v[44:45], v[20:21], v[4:5]
	ds_load_b128 v[4:7], v1 offset:544
	ds_load_b128 v[20:23], v1 offset:1088
	v_lshl_add_u64 v[0:1], v[36:37], 4, s[10:11]
	v_fmac_f64_e32 v[52:53], v[30:31], v[12:13]
	v_mul_f64_e32 v[42:43], v[38:39], v[50:51]
	v_fmac_f64_e32 v[46:47], v[28:29], v[12:13]
	ds_load_b128 v[12:15], v3 offset:1152
	ds_load_b128 v[28:31], v3 offset:608
	s_wait_dscnt 0x0
	; wave barrier
	v_mul_f64_e32 v[38:39], v[38:39], v[44:45]
	v_mul_f64_e32 v[48:49], v[40:41], v[52:53]
	v_mul_f64_e64 v[44:45], v[42:43], -v[6:7]
	v_mul_f64_e32 v[50:51], v[42:43], v[4:5]
	v_mul_f64_e64 v[52:53], v[42:43], -v[22:23]
	v_mul_f64_e32 v[54:55], v[42:43], v[20:21]
	v_mul_f64_e32 v[40:41], v[40:41], v[46:47]
	v_mul_f64_e64 v[46:47], v[48:49], -v[18:19]
	v_mul_f64_e32 v[56:57], v[48:49], v[16:17]
	v_mul_f64_e64 v[58:59], v[48:49], -v[14:15]
	v_mul_f64_e32 v[60:61], v[48:49], v[12:13]
	v_fmac_f64_e32 v[44:45], v[4:5], v[38:39]
	v_fmac_f64_e32 v[50:51], v[6:7], v[38:39]
	;; [unrolled: 1-line block ×4, first 2 shown]
	v_mul_f64_e32 v[4:5], v[42:43], v[10:11]
	v_mul_f64_e64 v[6:7], v[42:43], -v[8:9]
	v_mul_f64_e32 v[20:21], v[48:49], v[30:31]
	v_mul_f64_e64 v[22:23], v[48:49], -v[28:29]
	v_fmac_f64_e32 v[46:47], v[16:17], v[40:41]
	v_fmac_f64_e32 v[56:57], v[18:19], v[40:41]
	;; [unrolled: 1-line block ×4, first 2 shown]
	v_add_f64_e64 v[12:13], v[24:25], -v[44:45]
	v_add_f64_e64 v[14:15], v[26:27], -v[50:51]
	;; [unrolled: 1-line block ×4, first 2 shown]
	v_fma_f64 v[4:5], -v[8:9], v[38:39], v[4:5]
	v_fma_f64 v[6:7], -v[10:11], v[38:39], v[6:7]
	;; [unrolled: 1-line block ×4, first 2 shown]
	v_add_f64_e64 v[12:13], v[12:13], -v[46:47]
	v_add_f64_e64 v[14:15], v[14:15], -v[56:57]
	;; [unrolled: 1-line block ×4, first 2 shown]
	ds_store_b128 v2, v[12:15] offset:272
	ds_store_b128 v2, v[4:7]
	ds_store_b128 v2, v[16:19] offset:1088
	ds_store_b128 v2, v[8:11] offset:544
	s_wait_dscnt 0x0
	; wave barrier
	s_and_saveexec_b32 s0, vcc_lo
	s_cbranch_execz .LBB66_2
; %bb.1:
	v_add_nc_u32_e32 v3, 0x110, v2
	v_add_nc_u32_e32 v16, 0x220, v2
	ds_load_b128 v[4:7], v3
	ds_load_b128 v[8:11], v2 offset:128
	ds_load_b128 v[12:15], v3 offset:128
	ds_load_b128 v[16:19], v16
	v_add_nc_u32_e32 v3, 0x440, v2
	s_wait_dscnt 0x1
	v_mul_f64_e32 v[20:21], v[6:7], v[12:13]
	s_wait_dscnt 0x0
	v_mul_f64_e32 v[22:23], v[10:11], v[16:17]
	v_mul_f64_e64 v[24:25], v[6:7], -v[14:15]
	v_mul_f64_e64 v[26:27], v[10:11], -v[18:19]
	s_delay_alu instid0(VALU_DEP_4) | instskip(NEXT) | instid1(VALU_DEP_4)
	v_fmac_f64_e32 v[20:21], v[14:15], v[4:5]
	v_fmac_f64_e32 v[22:23], v[18:19], v[8:9]
	s_delay_alu instid0(VALU_DEP_4) | instskip(NEXT) | instid1(VALU_DEP_4)
	v_fmac_f64_e32 v[24:25], v[12:13], v[4:5]
	v_fmac_f64_e32 v[26:27], v[16:17], v[8:9]
	s_delay_alu instid0(VALU_DEP_3) | instskip(NEXT) | instid1(VALU_DEP_2)
	v_add_f64_e64 v[28:29], v[20:21], -v[22:23]
	v_add_f64_e64 v[30:31], v[24:25], -v[26:27]
	s_delay_alu instid0(VALU_DEP_2) | instskip(NEXT) | instid1(VALU_DEP_1)
	v_mul_f64_e32 v[32:33], v[28:29], v[28:29]
	v_fmac_f64_e32 v[32:33], v[30:31], v[30:31]
	s_delay_alu instid0(VALU_DEP_1) | instskip(SKIP_1) | instid1(VALU_DEP_2)
	v_div_scale_f64 v[20:21], null, v[32:33], v[32:33], 1.0
	v_div_scale_f64 v[24:25], vcc_lo, 1.0, v[32:33], 1.0
	v_rcp_f64_e32 v[34:35], v[20:21]
	v_nop
	s_delay_alu instid0(TRANS32_DEP_1) | instskip(NEXT) | instid1(VALU_DEP_1)
	v_fma_f64 v[22:23], -v[20:21], v[34:35], 1.0
	v_fmac_f64_e32 v[34:35], v[34:35], v[22:23]
	s_delay_alu instid0(VALU_DEP_1) | instskip(NEXT) | instid1(VALU_DEP_1)
	v_fma_f64 v[22:23], -v[20:21], v[34:35], 1.0
	v_fmac_f64_e32 v[34:35], v[34:35], v[22:23]
	s_delay_alu instid0(VALU_DEP_1) | instskip(NEXT) | instid1(VALU_DEP_1)
	v_mul_f64_e32 v[36:37], v[24:25], v[34:35]
	v_fma_f64 v[38:39], -v[20:21], v[36:37], v[24:25]
	ds_load_b128 v[20:23], v3
	ds_load_b128 v[24:27], v3 offset:128
	s_wait_dscnt 0x1
	v_mul_f64_e64 v[40:41], v[22:23], -v[14:15]
	v_mul_f64_e32 v[42:43], v[12:13], v[22:23]
	s_wait_dscnt 0x0
	v_mul_f64_e64 v[44:45], v[26:27], -v[18:19]
	v_mul_f64_e32 v[46:47], v[16:17], v[26:27]
	v_mul_f64_e64 v[48:49], v[6:7], -v[26:27]
	v_mul_f64_e32 v[6:7], v[6:7], v[24:25]
	v_div_fmas_f64 v[34:35], v[38:39], v[34:35], v[36:37]
	v_mul_f64_e32 v[36:37], v[10:11], v[20:21]
	v_mul_f64_e64 v[10:11], v[10:11], -v[22:23]
	v_fmac_f64_e32 v[40:41], v[12:13], v[20:21]
	v_fmac_f64_e32 v[42:43], v[14:15], v[20:21]
	;; [unrolled: 1-line block ×4, first 2 shown]
	v_fma_f64 v[12:13], v[30:31], 0, -v[28:29]
	v_fmac_f64_e32 v[48:49], v[24:25], v[4:5]
	v_fmac_f64_e32 v[6:7], v[26:27], v[4:5]
	v_fma_f64 v[4:5], 0, v[28:29], v[30:31]
	v_div_fixup_f64 v[14:15], v[34:35], v[32:33], 1.0
	v_fmac_f64_e32 v[36:37], v[22:23], v[8:9]
	v_fmac_f64_e32 v[10:11], v[20:21], v[8:9]
	v_add_f64_e64 v[18:19], v[40:41], -v[44:45]
	v_add_f64_e64 v[16:17], v[42:43], -v[46:47]
	v_mul_f64_e32 v[12:13], v[12:13], v[14:15]
	v_add_f64_e64 v[20:21], v[6:7], -v[36:37]
	v_add_f64_e64 v[22:23], v[48:49], -v[10:11]
	v_mul_f64_e32 v[14:15], v[4:5], v[14:15]
	s_delay_alu instid0(VALU_DEP_4) | instskip(SKIP_3) | instid1(VALU_DEP_4)
	v_mul_f64_e64 v[4:5], v[12:13], -v[16:17]
	v_mul_f64_e32 v[6:7], v[12:13], v[18:19]
	v_mul_f64_e64 v[8:9], v[12:13], -v[20:21]
	v_mul_f64_e32 v[10:11], v[12:13], v[22:23]
	v_fmac_f64_e32 v[4:5], v[18:19], v[14:15]
	s_delay_alu instid0(VALU_DEP_4) | instskip(NEXT) | instid1(VALU_DEP_4)
	v_fmac_f64_e32 v[6:7], v[16:17], v[14:15]
	v_fmac_f64_e32 v[8:9], v[22:23], v[14:15]
	s_delay_alu instid0(VALU_DEP_4)
	v_fmac_f64_e32 v[10:11], v[20:21], v[14:15]
	ds_store_b128 v2, v[4:7] offset:816
	ds_store_b128 v2, v[8:11] offset:944
.LBB66_2:
	s_or_b32 exec_lo, exec_lo, s0
	s_wait_dscnt 0x0
	; wave barrier
	ds_load_2addr_b64 v[2:5], v2 offset0:102 offset1:103
	s_wait_dscnt 0x0
	global_store_b128 v[0:1], v[2:5], off
	s_endpgm
	.section	.rodata,"a",@progbits
	.p2align	6, 0x0
	.amdhsa_kernel _ZN9rocsparseL49gtsv_nopivot_strided_batch_pcr_pow2_shared_kernelILj16E21rocsparse_complex_numIdEEEviiiPKT0_S5_S5_PS3_
		.amdhsa_group_segment_fixed_size 1360
		.amdhsa_private_segment_fixed_size 0
		.amdhsa_kernarg_size 48
		.amdhsa_user_sgpr_count 2
		.amdhsa_user_sgpr_dispatch_ptr 0
		.amdhsa_user_sgpr_queue_ptr 0
		.amdhsa_user_sgpr_kernarg_segment_ptr 1
		.amdhsa_user_sgpr_dispatch_id 0
		.amdhsa_user_sgpr_kernarg_preload_length 0
		.amdhsa_user_sgpr_kernarg_preload_offset 0
		.amdhsa_user_sgpr_private_segment_size 0
		.amdhsa_wavefront_size32 1
		.amdhsa_uses_dynamic_stack 0
		.amdhsa_enable_private_segment 0
		.amdhsa_system_sgpr_workgroup_id_x 1
		.amdhsa_system_sgpr_workgroup_id_y 0
		.amdhsa_system_sgpr_workgroup_id_z 0
		.amdhsa_system_sgpr_workgroup_info 0
		.amdhsa_system_vgpr_workitem_id 0
		.amdhsa_next_free_vgpr 62
		.amdhsa_next_free_sgpr 12
		.amdhsa_named_barrier_count 0
		.amdhsa_reserve_vcc 1
		.amdhsa_float_round_mode_32 0
		.amdhsa_float_round_mode_16_64 0
		.amdhsa_float_denorm_mode_32 3
		.amdhsa_float_denorm_mode_16_64 3
		.amdhsa_fp16_overflow 0
		.amdhsa_memory_ordered 1
		.amdhsa_forward_progress 1
		.amdhsa_inst_pref_size 21
		.amdhsa_round_robin_scheduling 0
		.amdhsa_exception_fp_ieee_invalid_op 0
		.amdhsa_exception_fp_denorm_src 0
		.amdhsa_exception_fp_ieee_div_zero 0
		.amdhsa_exception_fp_ieee_overflow 0
		.amdhsa_exception_fp_ieee_underflow 0
		.amdhsa_exception_fp_ieee_inexact 0
		.amdhsa_exception_int_div_zero 0
	.end_amdhsa_kernel
	.section	.text._ZN9rocsparseL49gtsv_nopivot_strided_batch_pcr_pow2_shared_kernelILj16E21rocsparse_complex_numIdEEEviiiPKT0_S5_S5_PS3_,"axG",@progbits,_ZN9rocsparseL49gtsv_nopivot_strided_batch_pcr_pow2_shared_kernelILj16E21rocsparse_complex_numIdEEEviiiPKT0_S5_S5_PS3_,comdat
.Lfunc_end66:
	.size	_ZN9rocsparseL49gtsv_nopivot_strided_batch_pcr_pow2_shared_kernelILj16E21rocsparse_complex_numIdEEEviiiPKT0_S5_S5_PS3_, .Lfunc_end66-_ZN9rocsparseL49gtsv_nopivot_strided_batch_pcr_pow2_shared_kernelILj16E21rocsparse_complex_numIdEEEviiiPKT0_S5_S5_PS3_
                                        ; -- End function
	.set _ZN9rocsparseL49gtsv_nopivot_strided_batch_pcr_pow2_shared_kernelILj16E21rocsparse_complex_numIdEEEviiiPKT0_S5_S5_PS3_.num_vgpr, 62
	.set _ZN9rocsparseL49gtsv_nopivot_strided_batch_pcr_pow2_shared_kernelILj16E21rocsparse_complex_numIdEEEviiiPKT0_S5_S5_PS3_.num_agpr, 0
	.set _ZN9rocsparseL49gtsv_nopivot_strided_batch_pcr_pow2_shared_kernelILj16E21rocsparse_complex_numIdEEEviiiPKT0_S5_S5_PS3_.numbered_sgpr, 12
	.set _ZN9rocsparseL49gtsv_nopivot_strided_batch_pcr_pow2_shared_kernelILj16E21rocsparse_complex_numIdEEEviiiPKT0_S5_S5_PS3_.num_named_barrier, 0
	.set _ZN9rocsparseL49gtsv_nopivot_strided_batch_pcr_pow2_shared_kernelILj16E21rocsparse_complex_numIdEEEviiiPKT0_S5_S5_PS3_.private_seg_size, 0
	.set _ZN9rocsparseL49gtsv_nopivot_strided_batch_pcr_pow2_shared_kernelILj16E21rocsparse_complex_numIdEEEviiiPKT0_S5_S5_PS3_.uses_vcc, 1
	.set _ZN9rocsparseL49gtsv_nopivot_strided_batch_pcr_pow2_shared_kernelILj16E21rocsparse_complex_numIdEEEviiiPKT0_S5_S5_PS3_.uses_flat_scratch, 0
	.set _ZN9rocsparseL49gtsv_nopivot_strided_batch_pcr_pow2_shared_kernelILj16E21rocsparse_complex_numIdEEEviiiPKT0_S5_S5_PS3_.has_dyn_sized_stack, 0
	.set _ZN9rocsparseL49gtsv_nopivot_strided_batch_pcr_pow2_shared_kernelILj16E21rocsparse_complex_numIdEEEviiiPKT0_S5_S5_PS3_.has_recursion, 0
	.set _ZN9rocsparseL49gtsv_nopivot_strided_batch_pcr_pow2_shared_kernelILj16E21rocsparse_complex_numIdEEEviiiPKT0_S5_S5_PS3_.has_indirect_call, 0
	.section	.AMDGPU.csdata,"",@progbits
; Kernel info:
; codeLenInByte = 2620
; TotalNumSgprs: 14
; NumVgprs: 62
; ScratchSize: 0
; MemoryBound: 0
; FloatMode: 240
; IeeeMode: 1
; LDSByteSize: 1360 bytes/workgroup (compile time only)
; SGPRBlocks: 0
; VGPRBlocks: 3
; NumSGPRsForWavesPerEU: 14
; NumVGPRsForWavesPerEU: 62
; NamedBarCnt: 0
; Occupancy: 16
; WaveLimiterHint : 0
; COMPUTE_PGM_RSRC2:SCRATCH_EN: 0
; COMPUTE_PGM_RSRC2:USER_SGPR: 2
; COMPUTE_PGM_RSRC2:TRAP_HANDLER: 0
; COMPUTE_PGM_RSRC2:TGID_X_EN: 1
; COMPUTE_PGM_RSRC2:TGID_Y_EN: 0
; COMPUTE_PGM_RSRC2:TGID_Z_EN: 0
; COMPUTE_PGM_RSRC2:TIDIG_COMP_CNT: 0
	.section	.text._ZN9rocsparseL49gtsv_nopivot_strided_batch_pcr_pow2_shared_kernelILj32E21rocsparse_complex_numIdEEEviiiPKT0_S5_S5_PS3_,"axG",@progbits,_ZN9rocsparseL49gtsv_nopivot_strided_batch_pcr_pow2_shared_kernelILj32E21rocsparse_complex_numIdEEEviiiPKT0_S5_S5_PS3_,comdat
	.globl	_ZN9rocsparseL49gtsv_nopivot_strided_batch_pcr_pow2_shared_kernelILj32E21rocsparse_complex_numIdEEEviiiPKT0_S5_S5_PS3_ ; -- Begin function _ZN9rocsparseL49gtsv_nopivot_strided_batch_pcr_pow2_shared_kernelILj32E21rocsparse_complex_numIdEEEviiiPKT0_S5_S5_PS3_
	.p2align	8
	.type	_ZN9rocsparseL49gtsv_nopivot_strided_batch_pcr_pow2_shared_kernelILj32E21rocsparse_complex_numIdEEEviiiPKT0_S5_S5_PS3_,@function
_ZN9rocsparseL49gtsv_nopivot_strided_batch_pcr_pow2_shared_kernelILj32E21rocsparse_complex_numIdEEEviiiPKT0_S5_S5_PS3_: ; @_ZN9rocsparseL49gtsv_nopivot_strided_batch_pcr_pow2_shared_kernelILj32E21rocsparse_complex_numIdEEEviiiPKT0_S5_S5_PS3_
; %bb.0:
	s_load_b32 s2, s[0:1], 0x8
	s_bfe_u32 s3, ttmp6, 0x4000c
	s_load_b256 s[4:11], s[0:1], 0x10
	s_add_co_i32 s3, s3, 1
	s_wait_xcnt 0x0
	s_and_b32 s0, ttmp6, 15
	s_mul_i32 s1, ttmp9, s3
	s_getreg_b32 s3, hwreg(HW_REG_IB_STS2, 6, 4)
	s_add_co_i32 s0, s0, s1
	s_cmp_eq_u32 s3, 0
	v_sub_nc_u32_e64 v1, v0, 1 clamp
	s_cselect_b32 s0, ttmp9, s0
	v_lshlrev_b32_e32 v4, 4, v0
	v_min_u32_e32 v3, 30, v0
	s_delay_alu instid0(VALU_DEP_3) | instskip(NEXT) | instid1(VALU_DEP_3)
	v_lshlrev_b32_e32 v1, 4, v1
	v_add_nc_u32_e32 v5, 0x840, v4
	s_delay_alu instid0(VALU_DEP_3)
	v_lshlrev_b32_e32 v3, 4, v3
	s_wait_kmcnt 0x0
	v_mad_u32 v2, s2, s0, v0
	s_clause 0x3
	global_load_b128 v[6:9], v2, s[4:5] scale_offset
	global_load_b128 v[10:13], v2, s[6:7] scale_offset
	;; [unrolled: 1-line block ×4, first 2 shown]
	s_wait_loadcnt 0x3
	ds_store_2addr_b64 v4, v[6:7], v[8:9] offset1:1
	s_wait_loadcnt 0x2
	ds_store_2addr_b64 v4, v[10:11], v[12:13] offset0:66 offset1:67
	s_wait_loadcnt 0x1
	ds_store_2addr_b64 v4, v[14:15], v[16:17] offset0:132 offset1:133
	s_wait_loadcnt 0x0
	ds_store_2addr_b64 v5, v[18:19], v[20:21] offset1:1
	s_wait_dscnt 0x0
	; wave barrier
	ds_load_b128 v[6:9], v1 offset:528
	ds_load_b128 v[10:13], v1
	ds_load_b128 v[14:17], v3 offset:544
	ds_load_b128 v[18:21], v3 offset:16
	s_wait_dscnt 0x3
	v_mul_f64_e32 v[38:39], v[8:9], v[8:9]
	s_wait_dscnt 0x1
	v_mul_f64_e32 v[40:41], v[16:17], v[16:17]
	s_delay_alu instid0(VALU_DEP_2) | instskip(NEXT) | instid1(VALU_DEP_2)
	v_fmac_f64_e32 v[38:39], v[6:7], v[6:7]
	v_fmac_f64_e32 v[40:41], v[14:15], v[14:15]
	s_delay_alu instid0(VALU_DEP_2) | instskip(SKIP_1) | instid1(VALU_DEP_3)
	v_div_scale_f64 v[22:23], null, v[38:39], v[38:39], 1.0
	v_div_scale_f64 v[28:29], vcc_lo, 1.0, v[38:39], 1.0
	v_div_scale_f64 v[30:31], null, v[40:41], v[40:41], 1.0
	v_div_scale_f64 v[34:35], s0, 1.0, v[40:41], 1.0
	s_delay_alu instid0(VALU_DEP_4) | instskip(NEXT) | instid1(VALU_DEP_2)
	v_rcp_f64_e32 v[32:33], v[22:23]
	v_rcp_f64_e32 v[42:43], v[30:31]
	s_delay_alu instid0(TRANS32_DEP_2) | instskip(NEXT) | instid1(TRANS32_DEP_1)
	v_fma_f64 v[24:25], -v[22:23], v[32:33], 1.0
	v_fma_f64 v[26:27], -v[30:31], v[42:43], 1.0
	s_delay_alu instid0(VALU_DEP_2) | instskip(NEXT) | instid1(VALU_DEP_2)
	v_fmac_f64_e32 v[32:33], v[32:33], v[24:25]
	v_fmac_f64_e32 v[42:43], v[42:43], v[26:27]
	s_delay_alu instid0(VALU_DEP_2) | instskip(NEXT) | instid1(VALU_DEP_2)
	v_fma_f64 v[24:25], -v[22:23], v[32:33], 1.0
	v_fma_f64 v[26:27], -v[30:31], v[42:43], 1.0
	s_delay_alu instid0(VALU_DEP_2) | instskip(NEXT) | instid1(VALU_DEP_2)
	v_fmac_f64_e32 v[32:33], v[32:33], v[24:25]
	v_fmac_f64_e32 v[42:43], v[42:43], v[26:27]
	s_delay_alu instid0(VALU_DEP_2) | instskip(NEXT) | instid1(VALU_DEP_2)
	v_mul_f64_e32 v[36:37], v[28:29], v[32:33]
	v_mul_f64_e32 v[44:45], v[34:35], v[42:43]
	s_delay_alu instid0(VALU_DEP_2)
	v_fma_f64 v[46:47], -v[22:23], v[36:37], v[28:29]
	ds_load_b128 v[22:25], v4
	ds_load_b128 v[26:29], v4 offset:528
	v_fma_f64 v[50:51], -v[30:31], v[44:45], v[34:35]
	s_wait_dscnt 0x1
	v_mul_f64_e64 v[48:49], v[8:9], -v[22:23]
	v_div_fmas_f64 v[46:47], v[46:47], v[32:33], v[36:37]
	ds_load_b128 v[30:33], v4 offset:1056
	ds_load_b128 v[34:37], v4 offset:2112
	s_mov_b32 vcc_lo, s0
	v_div_fmas_f64 v[42:43], v[50:51], v[42:43], v[44:45]
	v_mul_f64_e32 v[44:45], v[8:9], v[24:25]
	s_wait_dscnt 0x1
	v_mul_f64_e64 v[52:53], v[16:17], -v[30:31]
	v_fmac_f64_e32 v[48:49], v[24:25], v[6:7]
	v_div_fixup_f64 v[38:39], v[46:47], v[38:39], 1.0
	v_mul_f64_e32 v[46:47], v[16:17], v[32:33]
	v_div_fixup_f64 v[40:41], v[42:43], v[40:41], 1.0
	v_fmac_f64_e32 v[44:45], v[22:23], v[6:7]
	ds_load_b128 v[6:9], v1 offset:1056
	ds_load_b128 v[22:25], v1 offset:2112
	v_sub_nc_u32_e64 v1, v0, 2 clamp
	s_delay_alu instid0(VALU_DEP_1)
	v_lshlrev_b32_e32 v1, 4, v1
	v_fmac_f64_e32 v[52:53], v[32:33], v[14:15]
	v_mul_f64_e32 v[42:43], v[38:39], v[48:49]
	v_fmac_f64_e32 v[46:47], v[30:31], v[14:15]
	ds_load_b128 v[14:17], v3 offset:2128
	ds_load_b128 v[30:33], v3 offset:1072
	s_wait_dscnt 0x0
	; wave barrier
	v_min_u32_e32 v3, 29, v0
	s_delay_alu instid0(VALU_DEP_1)
	v_dual_mul_f64 v[38:39], v[38:39], v[44:45] :: v_dual_lshlrev_b32 v3, 4, v3
	v_mul_f64_e32 v[48:49], v[40:41], v[52:53]
	v_mul_f64_e64 v[44:45], v[42:43], -v[8:9]
	v_mul_f64_e32 v[50:51], v[42:43], v[6:7]
	v_mul_f64_e64 v[52:53], v[42:43], -v[24:25]
	v_mul_f64_e32 v[54:55], v[42:43], v[22:23]
	v_mul_f64_e32 v[40:41], v[40:41], v[46:47]
	v_mul_f64_e64 v[46:47], v[48:49], -v[20:21]
	v_mul_f64_e32 v[56:57], v[48:49], v[18:19]
	v_mul_f64_e64 v[58:59], v[48:49], -v[16:17]
	v_mul_f64_e32 v[60:61], v[48:49], v[14:15]
	v_fmac_f64_e32 v[44:45], v[6:7], v[38:39]
	v_fmac_f64_e32 v[50:51], v[8:9], v[38:39]
	;; [unrolled: 1-line block ×4, first 2 shown]
	v_mul_f64_e32 v[6:7], v[42:43], v[12:13]
	v_mul_f64_e64 v[8:9], v[42:43], -v[10:11]
	v_mul_f64_e32 v[22:23], v[48:49], v[32:33]
	v_mul_f64_e64 v[24:25], v[48:49], -v[30:31]
	v_fmac_f64_e32 v[46:47], v[18:19], v[40:41]
	v_fmac_f64_e32 v[56:57], v[20:21], v[40:41]
	v_fmac_f64_e32 v[58:59], v[14:15], v[40:41]
	v_fmac_f64_e32 v[60:61], v[16:17], v[40:41]
	v_add_f64_e64 v[14:15], v[26:27], -v[44:45]
	v_add_f64_e64 v[16:17], v[28:29], -v[50:51]
	;; [unrolled: 1-line block ×4, first 2 shown]
	v_fma_f64 v[6:7], -v[10:11], v[38:39], v[6:7]
	v_fma_f64 v[8:9], -v[12:13], v[38:39], v[8:9]
	;; [unrolled: 1-line block ×4, first 2 shown]
	v_add_f64_e64 v[14:15], v[14:15], -v[46:47]
	v_add_f64_e64 v[16:17], v[16:17], -v[56:57]
	;; [unrolled: 1-line block ×4, first 2 shown]
	ds_store_b128 v4, v[14:17] offset:528
	ds_store_b128 v4, v[6:9]
	ds_store_b128 v4, v[18:21] offset:2112
	ds_store_b128 v4, v[10:13] offset:1056
	s_wait_dscnt 0x0
	; wave barrier
	ds_load_b128 v[6:9], v1 offset:528
	ds_load_b128 v[10:13], v1
	ds_load_b128 v[14:17], v3 offset:560
	ds_load_b128 v[18:21], v3 offset:32
	s_wait_dscnt 0x3
	v_mul_f64_e32 v[38:39], v[8:9], v[8:9]
	s_wait_dscnt 0x1
	v_mul_f64_e32 v[40:41], v[16:17], v[16:17]
	s_delay_alu instid0(VALU_DEP_2) | instskip(NEXT) | instid1(VALU_DEP_2)
	v_fmac_f64_e32 v[38:39], v[6:7], v[6:7]
	v_fmac_f64_e32 v[40:41], v[14:15], v[14:15]
	s_delay_alu instid0(VALU_DEP_2) | instskip(NEXT) | instid1(VALU_DEP_2)
	v_div_scale_f64 v[22:23], null, v[38:39], v[38:39], 1.0
	v_div_scale_f64 v[30:31], null, v[40:41], v[40:41], 1.0
	v_div_scale_f64 v[28:29], vcc_lo, 1.0, v[38:39], 1.0
	v_div_scale_f64 v[34:35], s0, 1.0, v[40:41], 1.0
	s_delay_alu instid0(VALU_DEP_4) | instskip(NEXT) | instid1(VALU_DEP_3)
	v_rcp_f64_e32 v[32:33], v[22:23]
	v_rcp_f64_e32 v[42:43], v[30:31]
	s_delay_alu instid0(TRANS32_DEP_2) | instskip(NEXT) | instid1(TRANS32_DEP_1)
	v_fma_f64 v[24:25], -v[22:23], v[32:33], 1.0
	v_fma_f64 v[26:27], -v[30:31], v[42:43], 1.0
	s_delay_alu instid0(VALU_DEP_2) | instskip(NEXT) | instid1(VALU_DEP_2)
	v_fmac_f64_e32 v[32:33], v[32:33], v[24:25]
	v_fmac_f64_e32 v[42:43], v[42:43], v[26:27]
	s_delay_alu instid0(VALU_DEP_2) | instskip(NEXT) | instid1(VALU_DEP_2)
	v_fma_f64 v[24:25], -v[22:23], v[32:33], 1.0
	v_fma_f64 v[26:27], -v[30:31], v[42:43], 1.0
	s_delay_alu instid0(VALU_DEP_2) | instskip(NEXT) | instid1(VALU_DEP_2)
	v_fmac_f64_e32 v[32:33], v[32:33], v[24:25]
	v_fmac_f64_e32 v[42:43], v[42:43], v[26:27]
	s_delay_alu instid0(VALU_DEP_2) | instskip(NEXT) | instid1(VALU_DEP_2)
	v_mul_f64_e32 v[36:37], v[28:29], v[32:33]
	v_mul_f64_e32 v[44:45], v[34:35], v[42:43]
	s_delay_alu instid0(VALU_DEP_2)
	v_fma_f64 v[46:47], -v[22:23], v[36:37], v[28:29]
	ds_load_b128 v[22:25], v4
	ds_load_b128 v[26:29], v4 offset:528
	v_fma_f64 v[50:51], -v[30:31], v[44:45], v[34:35]
	s_wait_dscnt 0x1
	v_mul_f64_e64 v[48:49], v[8:9], -v[22:23]
	v_div_fmas_f64 v[46:47], v[46:47], v[32:33], v[36:37]
	ds_load_b128 v[30:33], v4 offset:1056
	ds_load_b128 v[34:37], v4 offset:2112
	s_mov_b32 vcc_lo, s0
	v_div_fmas_f64 v[42:43], v[50:51], v[42:43], v[44:45]
	v_mul_f64_e32 v[44:45], v[8:9], v[24:25]
	s_wait_dscnt 0x1
	v_mul_f64_e64 v[52:53], v[16:17], -v[30:31]
	v_fmac_f64_e32 v[48:49], v[24:25], v[6:7]
	v_div_fixup_f64 v[38:39], v[46:47], v[38:39], 1.0
	v_mul_f64_e32 v[46:47], v[16:17], v[32:33]
	v_div_fixup_f64 v[40:41], v[42:43], v[40:41], 1.0
	v_fmac_f64_e32 v[44:45], v[22:23], v[6:7]
	ds_load_b128 v[6:9], v1 offset:1056
	ds_load_b128 v[22:25], v1 offset:2112
	v_sub_nc_u32_e64 v1, v0, 4 clamp
	s_delay_alu instid0(VALU_DEP_1)
	v_lshlrev_b32_e32 v1, 4, v1
	v_fmac_f64_e32 v[52:53], v[32:33], v[14:15]
	v_mul_f64_e32 v[42:43], v[38:39], v[48:49]
	v_fmac_f64_e32 v[46:47], v[30:31], v[14:15]
	ds_load_b128 v[14:17], v3 offset:2144
	ds_load_b128 v[30:33], v3 offset:1088
	s_wait_dscnt 0x0
	; wave barrier
	v_mul_f64_e32 v[38:39], v[38:39], v[44:45]
	v_min_u32_e32 v3, 27, v0
	s_delay_alu instid0(VALU_DEP_1)
	v_dual_mul_f64 v[48:49], v[40:41], v[52:53] :: v_dual_lshlrev_b32 v3, 4, v3
	v_mul_f64_e64 v[44:45], v[42:43], -v[8:9]
	v_mul_f64_e32 v[50:51], v[42:43], v[6:7]
	v_mul_f64_e64 v[52:53], v[42:43], -v[24:25]
	v_mul_f64_e32 v[54:55], v[42:43], v[22:23]
	v_mul_f64_e32 v[40:41], v[40:41], v[46:47]
	v_mul_f64_e64 v[46:47], v[48:49], -v[20:21]
	v_mul_f64_e32 v[56:57], v[48:49], v[18:19]
	v_mul_f64_e64 v[58:59], v[48:49], -v[16:17]
	v_mul_f64_e32 v[60:61], v[48:49], v[14:15]
	v_fmac_f64_e32 v[44:45], v[6:7], v[38:39]
	v_fmac_f64_e32 v[50:51], v[8:9], v[38:39]
	;; [unrolled: 1-line block ×4, first 2 shown]
	v_mul_f64_e32 v[6:7], v[42:43], v[12:13]
	v_mul_f64_e64 v[8:9], v[42:43], -v[10:11]
	v_mul_f64_e32 v[22:23], v[48:49], v[32:33]
	v_mul_f64_e64 v[24:25], v[48:49], -v[30:31]
	v_fmac_f64_e32 v[46:47], v[18:19], v[40:41]
	v_fmac_f64_e32 v[56:57], v[20:21], v[40:41]
	;; [unrolled: 1-line block ×4, first 2 shown]
	v_add_f64_e64 v[14:15], v[26:27], -v[44:45]
	v_add_f64_e64 v[16:17], v[28:29], -v[50:51]
	;; [unrolled: 1-line block ×4, first 2 shown]
	v_fma_f64 v[6:7], -v[10:11], v[38:39], v[6:7]
	v_fma_f64 v[8:9], -v[12:13], v[38:39], v[8:9]
	;; [unrolled: 1-line block ×4, first 2 shown]
	v_add_f64_e64 v[14:15], v[14:15], -v[46:47]
	v_add_f64_e64 v[16:17], v[16:17], -v[56:57]
	v_add_f64_e64 v[18:19], v[18:19], -v[58:59]
	v_add_f64_e64 v[20:21], v[20:21], -v[60:61]
	ds_store_b128 v4, v[14:17] offset:528
	ds_store_b128 v4, v[6:9]
	ds_store_b128 v4, v[18:21] offset:2112
	ds_store_b128 v4, v[10:13] offset:1056
	s_wait_dscnt 0x0
	; wave barrier
	ds_load_b128 v[6:9], v1 offset:528
	ds_load_b128 v[10:13], v1
	ds_load_b128 v[14:17], v3 offset:592
	ds_load_b128 v[18:21], v3 offset:64
	s_wait_dscnt 0x3
	v_mul_f64_e32 v[38:39], v[8:9], v[8:9]
	s_wait_dscnt 0x1
	v_mul_f64_e32 v[40:41], v[16:17], v[16:17]
	s_delay_alu instid0(VALU_DEP_2) | instskip(NEXT) | instid1(VALU_DEP_2)
	v_fmac_f64_e32 v[38:39], v[6:7], v[6:7]
	v_fmac_f64_e32 v[40:41], v[14:15], v[14:15]
	s_delay_alu instid0(VALU_DEP_2) | instskip(NEXT) | instid1(VALU_DEP_2)
	v_div_scale_f64 v[22:23], null, v[38:39], v[38:39], 1.0
	v_div_scale_f64 v[30:31], null, v[40:41], v[40:41], 1.0
	v_div_scale_f64 v[28:29], vcc_lo, 1.0, v[38:39], 1.0
	v_div_scale_f64 v[34:35], s0, 1.0, v[40:41], 1.0
	s_delay_alu instid0(VALU_DEP_4) | instskip(NEXT) | instid1(VALU_DEP_3)
	v_rcp_f64_e32 v[32:33], v[22:23]
	v_rcp_f64_e32 v[42:43], v[30:31]
	s_delay_alu instid0(TRANS32_DEP_2) | instskip(NEXT) | instid1(TRANS32_DEP_1)
	v_fma_f64 v[24:25], -v[22:23], v[32:33], 1.0
	v_fma_f64 v[26:27], -v[30:31], v[42:43], 1.0
	s_delay_alu instid0(VALU_DEP_2) | instskip(NEXT) | instid1(VALU_DEP_2)
	v_fmac_f64_e32 v[32:33], v[32:33], v[24:25]
	v_fmac_f64_e32 v[42:43], v[42:43], v[26:27]
	s_delay_alu instid0(VALU_DEP_2) | instskip(NEXT) | instid1(VALU_DEP_2)
	v_fma_f64 v[24:25], -v[22:23], v[32:33], 1.0
	v_fma_f64 v[26:27], -v[30:31], v[42:43], 1.0
	s_delay_alu instid0(VALU_DEP_2) | instskip(NEXT) | instid1(VALU_DEP_2)
	v_fmac_f64_e32 v[32:33], v[32:33], v[24:25]
	v_fmac_f64_e32 v[42:43], v[42:43], v[26:27]
	s_delay_alu instid0(VALU_DEP_2) | instskip(NEXT) | instid1(VALU_DEP_2)
	v_mul_f64_e32 v[36:37], v[28:29], v[32:33]
	v_mul_f64_e32 v[44:45], v[34:35], v[42:43]
	s_delay_alu instid0(VALU_DEP_2)
	v_fma_f64 v[46:47], -v[22:23], v[36:37], v[28:29]
	ds_load_b128 v[22:25], v4
	ds_load_b128 v[26:29], v4 offset:528
	v_fma_f64 v[50:51], -v[30:31], v[44:45], v[34:35]
	s_wait_dscnt 0x1
	v_mul_f64_e64 v[48:49], v[8:9], -v[22:23]
	v_div_fmas_f64 v[46:47], v[46:47], v[32:33], v[36:37]
	ds_load_b128 v[30:33], v4 offset:1056
	ds_load_b128 v[34:37], v4 offset:2112
	s_mov_b32 vcc_lo, s0
	v_div_fmas_f64 v[42:43], v[50:51], v[42:43], v[44:45]
	v_mul_f64_e32 v[44:45], v[8:9], v[24:25]
	s_wait_dscnt 0x1
	v_mul_f64_e64 v[52:53], v[16:17], -v[30:31]
	v_fmac_f64_e32 v[48:49], v[24:25], v[6:7]
	v_div_fixup_f64 v[38:39], v[46:47], v[38:39], 1.0
	v_mul_f64_e32 v[46:47], v[16:17], v[32:33]
	v_div_fixup_f64 v[40:41], v[42:43], v[40:41], 1.0
	v_fmac_f64_e32 v[44:45], v[22:23], v[6:7]
	ds_load_b128 v[6:9], v1 offset:1056
	ds_load_b128 v[22:25], v1 offset:2112
	v_sub_nc_u32_e64 v1, v0, 8 clamp
	s_delay_alu instid0(VALU_DEP_1)
	v_lshlrev_b32_e32 v1, 4, v1
	v_fmac_f64_e32 v[52:53], v[32:33], v[14:15]
	v_mul_f64_e32 v[42:43], v[38:39], v[48:49]
	v_fmac_f64_e32 v[46:47], v[30:31], v[14:15]
	ds_load_b128 v[14:17], v3 offset:2176
	ds_load_b128 v[30:33], v3 offset:1120
	s_wait_dscnt 0x0
	; wave barrier
	v_mul_f64_e32 v[38:39], v[38:39], v[44:45]
	v_min_u32_e32 v3, 23, v0
	s_delay_alu instid0(VALU_DEP_1)
	v_dual_mul_f64 v[48:49], v[40:41], v[52:53] :: v_dual_lshlrev_b32 v3, 4, v3
	v_mul_f64_e64 v[44:45], v[42:43], -v[8:9]
	v_mul_f64_e32 v[50:51], v[42:43], v[6:7]
	v_mul_f64_e64 v[52:53], v[42:43], -v[24:25]
	v_mul_f64_e32 v[54:55], v[42:43], v[22:23]
	v_mul_f64_e32 v[40:41], v[40:41], v[46:47]
	v_mul_f64_e64 v[46:47], v[48:49], -v[20:21]
	v_mul_f64_e32 v[56:57], v[48:49], v[18:19]
	v_mul_f64_e64 v[58:59], v[48:49], -v[16:17]
	v_mul_f64_e32 v[60:61], v[48:49], v[14:15]
	v_fmac_f64_e32 v[44:45], v[6:7], v[38:39]
	v_fmac_f64_e32 v[50:51], v[8:9], v[38:39]
	;; [unrolled: 1-line block ×4, first 2 shown]
	v_mul_f64_e32 v[6:7], v[42:43], v[12:13]
	v_mul_f64_e64 v[8:9], v[42:43], -v[10:11]
	v_mul_f64_e32 v[22:23], v[48:49], v[32:33]
	v_mul_f64_e64 v[24:25], v[48:49], -v[30:31]
	v_fmac_f64_e32 v[46:47], v[18:19], v[40:41]
	v_fmac_f64_e32 v[56:57], v[20:21], v[40:41]
	;; [unrolled: 1-line block ×4, first 2 shown]
	v_add_f64_e64 v[14:15], v[26:27], -v[44:45]
	v_add_f64_e64 v[16:17], v[28:29], -v[50:51]
	;; [unrolled: 1-line block ×4, first 2 shown]
	v_fma_f64 v[6:7], -v[10:11], v[38:39], v[6:7]
	v_fma_f64 v[8:9], -v[12:13], v[38:39], v[8:9]
	;; [unrolled: 1-line block ×4, first 2 shown]
	v_add_f64_e64 v[14:15], v[14:15], -v[46:47]
	v_add_f64_e64 v[16:17], v[16:17], -v[56:57]
	;; [unrolled: 1-line block ×4, first 2 shown]
	ds_store_b128 v4, v[14:17] offset:528
	ds_store_b128 v4, v[6:9]
	ds_store_b128 v4, v[18:21] offset:2112
	ds_store_b128 v4, v[10:13] offset:1056
	s_wait_dscnt 0x0
	; wave barrier
	ds_load_b128 v[6:9], v1 offset:528
	ds_load_b128 v[10:13], v1
	ds_load_b128 v[14:17], v3 offset:656
	ds_load_b128 v[18:21], v3 offset:128
	s_wait_dscnt 0x3
	v_mul_f64_e32 v[38:39], v[8:9], v[8:9]
	s_wait_dscnt 0x1
	v_mul_f64_e32 v[40:41], v[16:17], v[16:17]
	s_delay_alu instid0(VALU_DEP_2) | instskip(NEXT) | instid1(VALU_DEP_2)
	v_fmac_f64_e32 v[38:39], v[6:7], v[6:7]
	v_fmac_f64_e32 v[40:41], v[14:15], v[14:15]
	s_delay_alu instid0(VALU_DEP_2) | instskip(NEXT) | instid1(VALU_DEP_2)
	v_div_scale_f64 v[22:23], null, v[38:39], v[38:39], 1.0
	v_div_scale_f64 v[30:31], null, v[40:41], v[40:41], 1.0
	v_div_scale_f64 v[28:29], vcc_lo, 1.0, v[38:39], 1.0
	v_div_scale_f64 v[34:35], s0, 1.0, v[40:41], 1.0
	s_delay_alu instid0(VALU_DEP_4) | instskip(NEXT) | instid1(VALU_DEP_3)
	v_rcp_f64_e32 v[32:33], v[22:23]
	v_rcp_f64_e32 v[42:43], v[30:31]
	s_delay_alu instid0(TRANS32_DEP_2) | instskip(NEXT) | instid1(TRANS32_DEP_1)
	v_fma_f64 v[24:25], -v[22:23], v[32:33], 1.0
	v_fma_f64 v[26:27], -v[30:31], v[42:43], 1.0
	s_delay_alu instid0(VALU_DEP_2) | instskip(NEXT) | instid1(VALU_DEP_2)
	v_fmac_f64_e32 v[32:33], v[32:33], v[24:25]
	v_fmac_f64_e32 v[42:43], v[42:43], v[26:27]
	s_delay_alu instid0(VALU_DEP_2) | instskip(NEXT) | instid1(VALU_DEP_2)
	v_fma_f64 v[24:25], -v[22:23], v[32:33], 1.0
	v_fma_f64 v[26:27], -v[30:31], v[42:43], 1.0
	s_delay_alu instid0(VALU_DEP_2) | instskip(NEXT) | instid1(VALU_DEP_2)
	v_fmac_f64_e32 v[32:33], v[32:33], v[24:25]
	v_fmac_f64_e32 v[42:43], v[42:43], v[26:27]
	s_delay_alu instid0(VALU_DEP_2) | instskip(NEXT) | instid1(VALU_DEP_2)
	v_mul_f64_e32 v[36:37], v[28:29], v[32:33]
	v_mul_f64_e32 v[44:45], v[34:35], v[42:43]
	s_delay_alu instid0(VALU_DEP_2)
	v_fma_f64 v[46:47], -v[22:23], v[36:37], v[28:29]
	ds_load_b128 v[22:25], v4
	ds_load_b128 v[26:29], v4 offset:528
	v_fma_f64 v[50:51], -v[30:31], v[44:45], v[34:35]
	s_wait_dscnt 0x1
	v_mul_f64_e64 v[48:49], v[8:9], -v[22:23]
	v_div_fmas_f64 v[46:47], v[46:47], v[32:33], v[36:37]
	ds_load_b128 v[30:33], v4 offset:1056
	ds_load_b128 v[34:37], v4 offset:2112
	s_mov_b32 vcc_lo, s0
	v_div_fmas_f64 v[42:43], v[50:51], v[42:43], v[44:45]
	v_mul_f64_e32 v[44:45], v[8:9], v[24:25]
	v_cmp_gt_u32_e32 vcc_lo, 16, v0
	s_wait_dscnt 0x1
	v_mul_f64_e64 v[52:53], v[16:17], -v[30:31]
	v_fmac_f64_e32 v[48:49], v[24:25], v[6:7]
	v_div_fixup_f64 v[38:39], v[46:47], v[38:39], 1.0
	v_mul_f64_e32 v[46:47], v[16:17], v[32:33]
	v_div_fixup_f64 v[40:41], v[42:43], v[40:41], 1.0
	v_fmac_f64_e32 v[44:45], v[22:23], v[6:7]
	ds_load_b128 v[6:9], v1 offset:1056
	ds_load_b128 v[22:25], v1 offset:2112
	v_fmac_f64_e32 v[52:53], v[32:33], v[14:15]
	v_mul_f64_e32 v[42:43], v[38:39], v[48:49]
	v_fmac_f64_e32 v[46:47], v[30:31], v[14:15]
	ds_load_b128 v[14:17], v3 offset:2240
	ds_load_b128 v[30:33], v3 offset:1184
	v_ashrrev_i32_e32 v3, 31, v2
	s_wait_dscnt 0x0
	v_mul_f64_e32 v[38:39], v[38:39], v[44:45]
	; wave barrier
	s_delay_alu instid0(VALU_DEP_2)
	v_lshl_add_u64 v[0:1], v[2:3], 4, s[10:11]
	v_mul_f64_e32 v[48:49], v[40:41], v[52:53]
	v_mul_f64_e64 v[44:45], v[42:43], -v[8:9]
	v_mul_f64_e32 v[50:51], v[42:43], v[6:7]
	v_mul_f64_e64 v[52:53], v[42:43], -v[24:25]
	v_mul_f64_e32 v[54:55], v[42:43], v[22:23]
	v_mul_f64_e32 v[40:41], v[40:41], v[46:47]
	v_mul_f64_e64 v[46:47], v[48:49], -v[20:21]
	v_mul_f64_e32 v[56:57], v[48:49], v[18:19]
	v_mul_f64_e64 v[58:59], v[48:49], -v[16:17]
	v_mul_f64_e32 v[60:61], v[48:49], v[14:15]
	v_fmac_f64_e32 v[44:45], v[6:7], v[38:39]
	v_fmac_f64_e32 v[50:51], v[8:9], v[38:39]
	;; [unrolled: 1-line block ×4, first 2 shown]
	v_mul_f64_e32 v[6:7], v[42:43], v[12:13]
	v_mul_f64_e64 v[8:9], v[42:43], -v[10:11]
	v_mul_f64_e32 v[22:23], v[48:49], v[32:33]
	v_mul_f64_e64 v[24:25], v[48:49], -v[30:31]
	v_fmac_f64_e32 v[46:47], v[18:19], v[40:41]
	v_fmac_f64_e32 v[56:57], v[20:21], v[40:41]
	;; [unrolled: 1-line block ×4, first 2 shown]
	v_add_f64_e64 v[14:15], v[26:27], -v[44:45]
	v_add_f64_e64 v[16:17], v[28:29], -v[50:51]
	v_add_f64_e64 v[18:19], v[34:35], -v[52:53]
	v_add_f64_e64 v[20:21], v[36:37], -v[54:55]
	v_fma_f64 v[6:7], -v[10:11], v[38:39], v[6:7]
	v_fma_f64 v[8:9], -v[12:13], v[38:39], v[8:9]
	;; [unrolled: 1-line block ×4, first 2 shown]
	v_add_f64_e64 v[14:15], v[14:15], -v[46:47]
	v_add_f64_e64 v[16:17], v[16:17], -v[56:57]
	;; [unrolled: 1-line block ×4, first 2 shown]
	ds_store_b128 v4, v[14:17] offset:528
	ds_store_b128 v4, v[6:9]
	ds_store_b128 v4, v[18:21] offset:2112
	ds_store_b128 v4, v[10:13] offset:1056
	s_wait_dscnt 0x0
	; wave barrier
	s_and_saveexec_b32 s0, vcc_lo
	s_cbranch_execz .LBB67_2
; %bb.1:
	v_add_nc_u32_e32 v2, 0x210, v4
	v_add_nc_u32_e32 v3, 0x420, v4
	ds_load_b128 v[6:9], v2
	ds_load_b128 v[10:13], v4 offset:256
	ds_load_b128 v[14:17], v2 offset:256
	ds_load_b128 v[18:21], v3
	s_wait_dscnt 0x1
	v_mul_f64_e32 v[2:3], v[8:9], v[14:15]
	s_wait_dscnt 0x0
	v_mul_f64_e32 v[22:23], v[12:13], v[18:19]
	v_mul_f64_e64 v[24:25], v[8:9], -v[16:17]
	v_mul_f64_e64 v[26:27], v[12:13], -v[20:21]
	s_delay_alu instid0(VALU_DEP_4) | instskip(NEXT) | instid1(VALU_DEP_4)
	v_fmac_f64_e32 v[2:3], v[16:17], v[6:7]
	v_fmac_f64_e32 v[22:23], v[20:21], v[10:11]
	s_delay_alu instid0(VALU_DEP_4) | instskip(NEXT) | instid1(VALU_DEP_4)
	v_fmac_f64_e32 v[24:25], v[14:15], v[6:7]
	v_fmac_f64_e32 v[26:27], v[18:19], v[10:11]
	s_delay_alu instid0(VALU_DEP_3) | instskip(NEXT) | instid1(VALU_DEP_2)
	v_add_f64_e64 v[2:3], v[2:3], -v[22:23]
	v_add_f64_e64 v[30:31], v[24:25], -v[26:27]
	s_delay_alu instid0(VALU_DEP_2) | instskip(NEXT) | instid1(VALU_DEP_1)
	v_mul_f64_e32 v[32:33], v[2:3], v[2:3]
	v_fmac_f64_e32 v[32:33], v[30:31], v[30:31]
	s_delay_alu instid0(VALU_DEP_1) | instskip(SKIP_1) | instid1(VALU_DEP_2)
	v_div_scale_f64 v[22:23], null, v[32:33], v[32:33], 1.0
	v_div_scale_f64 v[26:27], vcc_lo, 1.0, v[32:33], 1.0
	v_rcp_f64_e32 v[34:35], v[22:23]
	v_nop
	s_delay_alu instid0(TRANS32_DEP_1) | instskip(NEXT) | instid1(VALU_DEP_1)
	v_fma_f64 v[24:25], -v[22:23], v[34:35], 1.0
	v_fmac_f64_e32 v[34:35], v[34:35], v[24:25]
	s_delay_alu instid0(VALU_DEP_1) | instskip(NEXT) | instid1(VALU_DEP_1)
	v_fma_f64 v[24:25], -v[22:23], v[34:35], 1.0
	v_fmac_f64_e32 v[34:35], v[34:35], v[24:25]
	s_delay_alu instid0(VALU_DEP_1) | instskip(NEXT) | instid1(VALU_DEP_1)
	v_mul_f64_e32 v[36:37], v[26:27], v[34:35]
	v_fma_f64 v[38:39], -v[22:23], v[36:37], v[26:27]
	ds_load_b128 v[22:25], v5
	ds_load_b128 v[26:29], v5 offset:256
	s_wait_dscnt 0x1
	v_mul_f64_e64 v[40:41], v[24:25], -v[16:17]
	v_mul_f64_e32 v[42:43], v[14:15], v[24:25]
	s_wait_dscnt 0x0
	v_mul_f64_e64 v[44:45], v[28:29], -v[20:21]
	v_mul_f64_e32 v[46:47], v[18:19], v[28:29]
	v_mul_f64_e64 v[48:49], v[8:9], -v[28:29]
	v_mul_f64_e32 v[8:9], v[8:9], v[26:27]
	v_div_fmas_f64 v[34:35], v[38:39], v[34:35], v[36:37]
	v_mul_f64_e32 v[36:37], v[12:13], v[22:23]
	v_mul_f64_e64 v[12:13], v[12:13], -v[24:25]
	v_fmac_f64_e32 v[40:41], v[14:15], v[22:23]
	v_fmac_f64_e32 v[42:43], v[16:17], v[22:23]
	v_fmac_f64_e32 v[44:45], v[18:19], v[26:27]
	v_fmac_f64_e32 v[46:47], v[20:21], v[26:27]
	v_fma_f64 v[14:15], v[30:31], 0, -v[2:3]
	v_fmac_f64_e32 v[48:49], v[26:27], v[6:7]
	v_fmac_f64_e32 v[8:9], v[28:29], v[6:7]
	v_fma_f64 v[2:3], 0, v[2:3], v[30:31]
	v_div_fixup_f64 v[16:17], v[34:35], v[32:33], 1.0
	v_fmac_f64_e32 v[36:37], v[24:25], v[10:11]
	v_fmac_f64_e32 v[12:13], v[22:23], v[10:11]
	v_add_f64_e64 v[20:21], v[40:41], -v[44:45]
	v_add_f64_e64 v[18:19], v[42:43], -v[46:47]
	v_mul_f64_e32 v[14:15], v[14:15], v[16:17]
	v_add_f64_e64 v[22:23], v[8:9], -v[36:37]
	v_add_f64_e64 v[24:25], v[48:49], -v[12:13]
	v_mul_f64_e32 v[2:3], v[2:3], v[16:17]
	s_delay_alu instid0(VALU_DEP_4) | instskip(SKIP_3) | instid1(VALU_DEP_4)
	v_mul_f64_e64 v[6:7], v[14:15], -v[18:19]
	v_mul_f64_e32 v[8:9], v[14:15], v[20:21]
	v_mul_f64_e64 v[10:11], v[14:15], -v[22:23]
	v_mul_f64_e32 v[12:13], v[14:15], v[24:25]
	v_fmac_f64_e32 v[6:7], v[20:21], v[2:3]
	s_delay_alu instid0(VALU_DEP_4) | instskip(NEXT) | instid1(VALU_DEP_4)
	v_fmac_f64_e32 v[8:9], v[18:19], v[2:3]
	v_fmac_f64_e32 v[10:11], v[24:25], v[2:3]
	s_delay_alu instid0(VALU_DEP_4)
	v_fmac_f64_e32 v[12:13], v[22:23], v[2:3]
	ds_store_b128 v4, v[6:9] offset:1584
	ds_store_b128 v4, v[10:13] offset:1840
.LBB67_2:
	s_or_b32 exec_lo, exec_lo, s0
	s_wait_dscnt 0x0
	; wave barrier
	ds_load_2addr_b64 v[2:5], v4 offset0:198 offset1:199
	s_wait_dscnt 0x0
	global_store_b128 v[0:1], v[2:5], off
	s_endpgm
	.section	.rodata,"a",@progbits
	.p2align	6, 0x0
	.amdhsa_kernel _ZN9rocsparseL49gtsv_nopivot_strided_batch_pcr_pow2_shared_kernelILj32E21rocsparse_complex_numIdEEEviiiPKT0_S5_S5_PS3_
		.amdhsa_group_segment_fixed_size 2640
		.amdhsa_private_segment_fixed_size 0
		.amdhsa_kernarg_size 48
		.amdhsa_user_sgpr_count 2
		.amdhsa_user_sgpr_dispatch_ptr 0
		.amdhsa_user_sgpr_queue_ptr 0
		.amdhsa_user_sgpr_kernarg_segment_ptr 1
		.amdhsa_user_sgpr_dispatch_id 0
		.amdhsa_user_sgpr_kernarg_preload_length 0
		.amdhsa_user_sgpr_kernarg_preload_offset 0
		.amdhsa_user_sgpr_private_segment_size 0
		.amdhsa_wavefront_size32 1
		.amdhsa_uses_dynamic_stack 0
		.amdhsa_enable_private_segment 0
		.amdhsa_system_sgpr_workgroup_id_x 1
		.amdhsa_system_sgpr_workgroup_id_y 0
		.amdhsa_system_sgpr_workgroup_id_z 0
		.amdhsa_system_sgpr_workgroup_info 0
		.amdhsa_system_vgpr_workitem_id 0
		.amdhsa_next_free_vgpr 62
		.amdhsa_next_free_sgpr 12
		.amdhsa_named_barrier_count 0
		.amdhsa_reserve_vcc 1
		.amdhsa_float_round_mode_32 0
		.amdhsa_float_round_mode_16_64 0
		.amdhsa_float_denorm_mode_32 3
		.amdhsa_float_denorm_mode_16_64 3
		.amdhsa_fp16_overflow 0
		.amdhsa_memory_ordered 1
		.amdhsa_forward_progress 1
		.amdhsa_inst_pref_size 26
		.amdhsa_round_robin_scheduling 0
		.amdhsa_exception_fp_ieee_invalid_op 0
		.amdhsa_exception_fp_denorm_src 0
		.amdhsa_exception_fp_ieee_div_zero 0
		.amdhsa_exception_fp_ieee_overflow 0
		.amdhsa_exception_fp_ieee_underflow 0
		.amdhsa_exception_fp_ieee_inexact 0
		.amdhsa_exception_int_div_zero 0
	.end_amdhsa_kernel
	.section	.text._ZN9rocsparseL49gtsv_nopivot_strided_batch_pcr_pow2_shared_kernelILj32E21rocsparse_complex_numIdEEEviiiPKT0_S5_S5_PS3_,"axG",@progbits,_ZN9rocsparseL49gtsv_nopivot_strided_batch_pcr_pow2_shared_kernelILj32E21rocsparse_complex_numIdEEEviiiPKT0_S5_S5_PS3_,comdat
.Lfunc_end67:
	.size	_ZN9rocsparseL49gtsv_nopivot_strided_batch_pcr_pow2_shared_kernelILj32E21rocsparse_complex_numIdEEEviiiPKT0_S5_S5_PS3_, .Lfunc_end67-_ZN9rocsparseL49gtsv_nopivot_strided_batch_pcr_pow2_shared_kernelILj32E21rocsparse_complex_numIdEEEviiiPKT0_S5_S5_PS3_
                                        ; -- End function
	.set _ZN9rocsparseL49gtsv_nopivot_strided_batch_pcr_pow2_shared_kernelILj32E21rocsparse_complex_numIdEEEviiiPKT0_S5_S5_PS3_.num_vgpr, 62
	.set _ZN9rocsparseL49gtsv_nopivot_strided_batch_pcr_pow2_shared_kernelILj32E21rocsparse_complex_numIdEEEviiiPKT0_S5_S5_PS3_.num_agpr, 0
	.set _ZN9rocsparseL49gtsv_nopivot_strided_batch_pcr_pow2_shared_kernelILj32E21rocsparse_complex_numIdEEEviiiPKT0_S5_S5_PS3_.numbered_sgpr, 12
	.set _ZN9rocsparseL49gtsv_nopivot_strided_batch_pcr_pow2_shared_kernelILj32E21rocsparse_complex_numIdEEEviiiPKT0_S5_S5_PS3_.num_named_barrier, 0
	.set _ZN9rocsparseL49gtsv_nopivot_strided_batch_pcr_pow2_shared_kernelILj32E21rocsparse_complex_numIdEEEviiiPKT0_S5_S5_PS3_.private_seg_size, 0
	.set _ZN9rocsparseL49gtsv_nopivot_strided_batch_pcr_pow2_shared_kernelILj32E21rocsparse_complex_numIdEEEviiiPKT0_S5_S5_PS3_.uses_vcc, 1
	.set _ZN9rocsparseL49gtsv_nopivot_strided_batch_pcr_pow2_shared_kernelILj32E21rocsparse_complex_numIdEEEviiiPKT0_S5_S5_PS3_.uses_flat_scratch, 0
	.set _ZN9rocsparseL49gtsv_nopivot_strided_batch_pcr_pow2_shared_kernelILj32E21rocsparse_complex_numIdEEEviiiPKT0_S5_S5_PS3_.has_dyn_sized_stack, 0
	.set _ZN9rocsparseL49gtsv_nopivot_strided_batch_pcr_pow2_shared_kernelILj32E21rocsparse_complex_numIdEEEviiiPKT0_S5_S5_PS3_.has_recursion, 0
	.set _ZN9rocsparseL49gtsv_nopivot_strided_batch_pcr_pow2_shared_kernelILj32E21rocsparse_complex_numIdEEEviiiPKT0_S5_S5_PS3_.has_indirect_call, 0
	.section	.AMDGPU.csdata,"",@progbits
; Kernel info:
; codeLenInByte = 3260
; TotalNumSgprs: 14
; NumVgprs: 62
; ScratchSize: 0
; MemoryBound: 0
; FloatMode: 240
; IeeeMode: 1
; LDSByteSize: 2640 bytes/workgroup (compile time only)
; SGPRBlocks: 0
; VGPRBlocks: 3
; NumSGPRsForWavesPerEU: 14
; NumVGPRsForWavesPerEU: 62
; NamedBarCnt: 0
; Occupancy: 16
; WaveLimiterHint : 0
; COMPUTE_PGM_RSRC2:SCRATCH_EN: 0
; COMPUTE_PGM_RSRC2:USER_SGPR: 2
; COMPUTE_PGM_RSRC2:TRAP_HANDLER: 0
; COMPUTE_PGM_RSRC2:TGID_X_EN: 1
; COMPUTE_PGM_RSRC2:TGID_Y_EN: 0
; COMPUTE_PGM_RSRC2:TGID_Z_EN: 0
; COMPUTE_PGM_RSRC2:TIDIG_COMP_CNT: 0
	.section	.text._ZN9rocsparseL49gtsv_nopivot_strided_batch_pcr_pow2_shared_kernelILj64E21rocsparse_complex_numIdEEEviiiPKT0_S5_S5_PS3_,"axG",@progbits,_ZN9rocsparseL49gtsv_nopivot_strided_batch_pcr_pow2_shared_kernelILj64E21rocsparse_complex_numIdEEEviiiPKT0_S5_S5_PS3_,comdat
	.globl	_ZN9rocsparseL49gtsv_nopivot_strided_batch_pcr_pow2_shared_kernelILj64E21rocsparse_complex_numIdEEEviiiPKT0_S5_S5_PS3_ ; -- Begin function _ZN9rocsparseL49gtsv_nopivot_strided_batch_pcr_pow2_shared_kernelILj64E21rocsparse_complex_numIdEEEviiiPKT0_S5_S5_PS3_
	.p2align	8
	.type	_ZN9rocsparseL49gtsv_nopivot_strided_batch_pcr_pow2_shared_kernelILj64E21rocsparse_complex_numIdEEEviiiPKT0_S5_S5_PS3_,@function
_ZN9rocsparseL49gtsv_nopivot_strided_batch_pcr_pow2_shared_kernelILj64E21rocsparse_complex_numIdEEEviiiPKT0_S5_S5_PS3_: ; @_ZN9rocsparseL49gtsv_nopivot_strided_batch_pcr_pow2_shared_kernelILj64E21rocsparse_complex_numIdEEEviiiPKT0_S5_S5_PS3_
; %bb.0:
	s_load_b32 s2, s[0:1], 0x8
	s_bfe_u32 s3, ttmp6, 0x4000c
	s_load_b256 s[4:11], s[0:1], 0x10
	s_add_co_i32 s3, s3, 1
	s_wait_xcnt 0x0
	s_and_b32 s0, ttmp6, 15
	s_mul_i32 s1, ttmp9, s3
	s_getreg_b32 s3, hwreg(HW_REG_IB_STS2, 6, 4)
	s_add_co_i32 s0, s0, s1
	s_cmp_eq_u32 s3, 0
	v_sub_nc_u32_e64 v3, v0, 1 clamp
	s_cselect_b32 s0, ttmp9, s0
	s_delay_alu instid0(VALU_DEP_1) | instskip(NEXT) | instid1(VALU_DEP_1)
	v_dual_lshlrev_b32 v1, 4, v0 :: v_dual_lshlrev_b32 v3, 4, v3
	v_add_nc_u32_e32 v5, 0x820, v1
	v_add_nc_u32_e32 v4, 0x1040, v1
	s_wait_kmcnt 0x0
	v_mad_u32 v2, s2, s0, v0
	s_clause 0x3
	global_load_b128 v[6:9], v2, s[4:5] scale_offset
	global_load_b128 v[10:13], v2, s[6:7] scale_offset
	;; [unrolled: 1-line block ×4, first 2 shown]
	s_wait_loadcnt 0x3
	ds_store_2addr_b64 v1, v[6:7], v[8:9] offset1:1
	s_wait_loadcnt 0x2
	ds_store_2addr_b64 v1, v[10:11], v[12:13] offset0:130 offset1:131
	s_wait_loadcnt 0x1
	ds_store_2addr_b64 v5, v[14:15], v[16:17] offset1:1
	s_wait_loadcnt 0x0
	ds_store_2addr_b64 v4, v[18:19], v[20:21] offset1:1
	s_wait_dscnt 0x0
	s_barrier_signal -1
	s_barrier_wait -1
	ds_load_b128 v[6:9], v3 offset:1040
	ds_load_b128 v[10:13], v3
	v_min_u32_e32 v14, 62, v0
	s_delay_alu instid0(VALU_DEP_1)
	v_lshlrev_b32_e32 v56, 4, v14
	ds_load_b128 v[14:17], v56 offset:1056
	ds_load_b128 v[18:21], v56 offset:16
	s_wait_dscnt 0x3
	v_mul_f64_e32 v[38:39], v[8:9], v[8:9]
	s_wait_dscnt 0x1
	v_mul_f64_e32 v[40:41], v[16:17], v[16:17]
	s_delay_alu instid0(VALU_DEP_2) | instskip(NEXT) | instid1(VALU_DEP_2)
	v_fmac_f64_e32 v[38:39], v[6:7], v[6:7]
	v_fmac_f64_e32 v[40:41], v[14:15], v[14:15]
	s_delay_alu instid0(VALU_DEP_2) | instskip(SKIP_1) | instid1(VALU_DEP_3)
	v_div_scale_f64 v[22:23], null, v[38:39], v[38:39], 1.0
	v_div_scale_f64 v[28:29], vcc_lo, 1.0, v[38:39], 1.0
	v_div_scale_f64 v[30:31], null, v[40:41], v[40:41], 1.0
	v_div_scale_f64 v[34:35], s0, 1.0, v[40:41], 1.0
	s_delay_alu instid0(VALU_DEP_4) | instskip(NEXT) | instid1(VALU_DEP_2)
	v_rcp_f64_e32 v[32:33], v[22:23]
	v_rcp_f64_e32 v[42:43], v[30:31]
	s_delay_alu instid0(TRANS32_DEP_2) | instskip(NEXT) | instid1(TRANS32_DEP_1)
	v_fma_f64 v[24:25], -v[22:23], v[32:33], 1.0
	v_fma_f64 v[26:27], -v[30:31], v[42:43], 1.0
	s_delay_alu instid0(VALU_DEP_2) | instskip(NEXT) | instid1(VALU_DEP_2)
	v_fmac_f64_e32 v[32:33], v[32:33], v[24:25]
	v_fmac_f64_e32 v[42:43], v[42:43], v[26:27]
	s_delay_alu instid0(VALU_DEP_2) | instskip(NEXT) | instid1(VALU_DEP_2)
	v_fma_f64 v[24:25], -v[22:23], v[32:33], 1.0
	v_fma_f64 v[26:27], -v[30:31], v[42:43], 1.0
	s_delay_alu instid0(VALU_DEP_2) | instskip(NEXT) | instid1(VALU_DEP_2)
	v_fmac_f64_e32 v[32:33], v[32:33], v[24:25]
	v_fmac_f64_e32 v[42:43], v[42:43], v[26:27]
	s_delay_alu instid0(VALU_DEP_2) | instskip(NEXT) | instid1(VALU_DEP_2)
	v_mul_f64_e32 v[36:37], v[28:29], v[32:33]
	v_mul_f64_e32 v[44:45], v[34:35], v[42:43]
	s_delay_alu instid0(VALU_DEP_2)
	v_fma_f64 v[46:47], -v[22:23], v[36:37], v[28:29]
	ds_load_b128 v[22:25], v1
	ds_load_b128 v[26:29], v1 offset:1040
	v_fma_f64 v[50:51], -v[30:31], v[44:45], v[34:35]
	s_wait_dscnt 0x1
	v_mul_f64_e64 v[48:49], v[8:9], -v[22:23]
	v_div_fmas_f64 v[46:47], v[46:47], v[32:33], v[36:37]
	ds_load_b128 v[30:33], v1 offset:2080
	ds_load_b128 v[34:37], v1 offset:4160
	s_mov_b32 vcc_lo, s0
	v_div_fmas_f64 v[42:43], v[50:51], v[42:43], v[44:45]
	v_mul_f64_e32 v[44:45], v[8:9], v[24:25]
	s_wait_dscnt 0x1
	v_mul_f64_e64 v[52:53], v[16:17], -v[30:31]
	v_fmac_f64_e32 v[48:49], v[24:25], v[6:7]
	v_div_fixup_f64 v[38:39], v[46:47], v[38:39], 1.0
	v_mul_f64_e32 v[46:47], v[16:17], v[32:33]
	v_div_fixup_f64 v[40:41], v[42:43], v[40:41], 1.0
	v_fmac_f64_e32 v[44:45], v[22:23], v[6:7]
	ds_load_b128 v[6:9], v3 offset:2080
	ds_load_b128 v[22:25], v3 offset:4160
	v_sub_nc_u32_e64 v3, v0, 2 clamp
	s_delay_alu instid0(VALU_DEP_1)
	v_lshlrev_b32_e32 v3, 4, v3
	v_fmac_f64_e32 v[52:53], v[32:33], v[14:15]
	v_mul_f64_e32 v[42:43], v[38:39], v[48:49]
	v_fmac_f64_e32 v[46:47], v[30:31], v[14:15]
	ds_load_b128 v[14:17], v56 offset:4176
	ds_load_b128 v[30:33], v56 offset:2096
	s_wait_dscnt 0x0
	s_barrier_signal -1
	s_barrier_wait -1
	v_mul_f64_e32 v[38:39], v[38:39], v[44:45]
	v_mul_f64_e32 v[48:49], v[40:41], v[52:53]
	v_mul_f64_e64 v[44:45], v[42:43], -v[8:9]
	v_mul_f64_e32 v[50:51], v[42:43], v[6:7]
	v_mul_f64_e64 v[52:53], v[42:43], -v[24:25]
	v_mul_f64_e32 v[54:55], v[42:43], v[22:23]
	v_mul_f64_e32 v[40:41], v[40:41], v[46:47]
	v_mul_f64_e64 v[46:47], v[48:49], -v[20:21]
	v_mul_f64_e32 v[56:57], v[48:49], v[18:19]
	v_mul_f64_e64 v[58:59], v[48:49], -v[16:17]
	v_mul_f64_e32 v[60:61], v[48:49], v[14:15]
	v_fmac_f64_e32 v[44:45], v[6:7], v[38:39]
	v_fmac_f64_e32 v[50:51], v[8:9], v[38:39]
	;; [unrolled: 1-line block ×4, first 2 shown]
	v_mul_f64_e32 v[6:7], v[42:43], v[12:13]
	v_mul_f64_e64 v[8:9], v[42:43], -v[10:11]
	v_mul_f64_e32 v[22:23], v[48:49], v[32:33]
	v_mul_f64_e64 v[24:25], v[48:49], -v[30:31]
	v_fmac_f64_e32 v[46:47], v[18:19], v[40:41]
	v_fmac_f64_e32 v[56:57], v[20:21], v[40:41]
	v_fmac_f64_e32 v[58:59], v[14:15], v[40:41]
	v_fmac_f64_e32 v[60:61], v[16:17], v[40:41]
	v_add_f64_e64 v[14:15], v[26:27], -v[44:45]
	v_add_f64_e64 v[16:17], v[28:29], -v[50:51]
	;; [unrolled: 1-line block ×4, first 2 shown]
	v_fma_f64 v[6:7], -v[10:11], v[38:39], v[6:7]
	v_fma_f64 v[8:9], -v[12:13], v[38:39], v[8:9]
	;; [unrolled: 1-line block ×4, first 2 shown]
	v_add_f64_e64 v[14:15], v[14:15], -v[46:47]
	v_add_f64_e64 v[16:17], v[16:17], -v[56:57]
	;; [unrolled: 1-line block ×4, first 2 shown]
	ds_store_b128 v1, v[14:17] offset:1040
	ds_store_b128 v1, v[6:9]
	ds_store_b128 v1, v[18:21] offset:4160
	ds_store_b128 v1, v[10:13] offset:2080
	s_wait_dscnt 0x0
	s_barrier_signal -1
	s_barrier_wait -1
	ds_load_b128 v[6:9], v3 offset:1040
	ds_load_b128 v[10:13], v3
	v_min_u32_e32 v14, 61, v0
	s_delay_alu instid0(VALU_DEP_1)
	v_lshlrev_b32_e32 v56, 4, v14
	ds_load_b128 v[14:17], v56 offset:1072
	ds_load_b128 v[18:21], v56 offset:32
	s_wait_dscnt 0x3
	v_mul_f64_e32 v[38:39], v[8:9], v[8:9]
	s_wait_dscnt 0x1
	v_mul_f64_e32 v[40:41], v[16:17], v[16:17]
	s_delay_alu instid0(VALU_DEP_2) | instskip(NEXT) | instid1(VALU_DEP_2)
	v_fmac_f64_e32 v[38:39], v[6:7], v[6:7]
	v_fmac_f64_e32 v[40:41], v[14:15], v[14:15]
	s_delay_alu instid0(VALU_DEP_2) | instskip(SKIP_1) | instid1(VALU_DEP_3)
	v_div_scale_f64 v[22:23], null, v[38:39], v[38:39], 1.0
	v_div_scale_f64 v[28:29], vcc_lo, 1.0, v[38:39], 1.0
	v_div_scale_f64 v[30:31], null, v[40:41], v[40:41], 1.0
	v_div_scale_f64 v[34:35], s0, 1.0, v[40:41], 1.0
	s_delay_alu instid0(VALU_DEP_4) | instskip(NEXT) | instid1(VALU_DEP_2)
	v_rcp_f64_e32 v[32:33], v[22:23]
	v_rcp_f64_e32 v[42:43], v[30:31]
	s_delay_alu instid0(TRANS32_DEP_2) | instskip(NEXT) | instid1(TRANS32_DEP_1)
	v_fma_f64 v[24:25], -v[22:23], v[32:33], 1.0
	v_fma_f64 v[26:27], -v[30:31], v[42:43], 1.0
	s_delay_alu instid0(VALU_DEP_2) | instskip(NEXT) | instid1(VALU_DEP_2)
	v_fmac_f64_e32 v[32:33], v[32:33], v[24:25]
	v_fmac_f64_e32 v[42:43], v[42:43], v[26:27]
	s_delay_alu instid0(VALU_DEP_2) | instskip(NEXT) | instid1(VALU_DEP_2)
	v_fma_f64 v[24:25], -v[22:23], v[32:33], 1.0
	v_fma_f64 v[26:27], -v[30:31], v[42:43], 1.0
	s_delay_alu instid0(VALU_DEP_2) | instskip(NEXT) | instid1(VALU_DEP_2)
	v_fmac_f64_e32 v[32:33], v[32:33], v[24:25]
	v_fmac_f64_e32 v[42:43], v[42:43], v[26:27]
	s_delay_alu instid0(VALU_DEP_2) | instskip(NEXT) | instid1(VALU_DEP_2)
	v_mul_f64_e32 v[36:37], v[28:29], v[32:33]
	v_mul_f64_e32 v[44:45], v[34:35], v[42:43]
	s_delay_alu instid0(VALU_DEP_2)
	v_fma_f64 v[46:47], -v[22:23], v[36:37], v[28:29]
	ds_load_b128 v[22:25], v1
	ds_load_b128 v[26:29], v1 offset:1040
	v_fma_f64 v[50:51], -v[30:31], v[44:45], v[34:35]
	s_wait_dscnt 0x1
	v_mul_f64_e64 v[48:49], v[8:9], -v[22:23]
	v_div_fmas_f64 v[46:47], v[46:47], v[32:33], v[36:37]
	ds_load_b128 v[30:33], v1 offset:2080
	ds_load_b128 v[34:37], v1 offset:4160
	s_mov_b32 vcc_lo, s0
	v_div_fmas_f64 v[42:43], v[50:51], v[42:43], v[44:45]
	v_mul_f64_e32 v[44:45], v[8:9], v[24:25]
	s_wait_dscnt 0x1
	v_mul_f64_e64 v[52:53], v[16:17], -v[30:31]
	v_fmac_f64_e32 v[48:49], v[24:25], v[6:7]
	v_div_fixup_f64 v[38:39], v[46:47], v[38:39], 1.0
	v_mul_f64_e32 v[46:47], v[16:17], v[32:33]
	v_div_fixup_f64 v[40:41], v[42:43], v[40:41], 1.0
	v_fmac_f64_e32 v[44:45], v[22:23], v[6:7]
	ds_load_b128 v[6:9], v3 offset:2080
	ds_load_b128 v[22:25], v3 offset:4160
	v_sub_nc_u32_e64 v3, v0, 4 clamp
	s_delay_alu instid0(VALU_DEP_1)
	v_lshlrev_b32_e32 v3, 4, v3
	v_fmac_f64_e32 v[52:53], v[32:33], v[14:15]
	v_mul_f64_e32 v[42:43], v[38:39], v[48:49]
	v_fmac_f64_e32 v[46:47], v[30:31], v[14:15]
	ds_load_b128 v[14:17], v56 offset:4192
	ds_load_b128 v[30:33], v56 offset:2112
	s_wait_dscnt 0x0
	s_barrier_signal -1
	s_barrier_wait -1
	v_mul_f64_e32 v[38:39], v[38:39], v[44:45]
	v_mul_f64_e32 v[48:49], v[40:41], v[52:53]
	v_mul_f64_e64 v[44:45], v[42:43], -v[8:9]
	v_mul_f64_e32 v[50:51], v[42:43], v[6:7]
	v_mul_f64_e64 v[52:53], v[42:43], -v[24:25]
	v_mul_f64_e32 v[54:55], v[42:43], v[22:23]
	v_mul_f64_e32 v[40:41], v[40:41], v[46:47]
	v_mul_f64_e64 v[46:47], v[48:49], -v[20:21]
	v_mul_f64_e32 v[56:57], v[48:49], v[18:19]
	v_mul_f64_e64 v[58:59], v[48:49], -v[16:17]
	v_mul_f64_e32 v[60:61], v[48:49], v[14:15]
	v_fmac_f64_e32 v[44:45], v[6:7], v[38:39]
	v_fmac_f64_e32 v[50:51], v[8:9], v[38:39]
	v_fmac_f64_e32 v[52:53], v[22:23], v[38:39]
	v_fmac_f64_e32 v[54:55], v[24:25], v[38:39]
	v_mul_f64_e32 v[6:7], v[42:43], v[12:13]
	v_mul_f64_e64 v[8:9], v[42:43], -v[10:11]
	v_mul_f64_e32 v[22:23], v[48:49], v[32:33]
	v_mul_f64_e64 v[24:25], v[48:49], -v[30:31]
	v_fmac_f64_e32 v[46:47], v[18:19], v[40:41]
	v_fmac_f64_e32 v[56:57], v[20:21], v[40:41]
	;; [unrolled: 1-line block ×4, first 2 shown]
	v_add_f64_e64 v[14:15], v[26:27], -v[44:45]
	v_add_f64_e64 v[16:17], v[28:29], -v[50:51]
	;; [unrolled: 1-line block ×4, first 2 shown]
	v_fma_f64 v[6:7], -v[10:11], v[38:39], v[6:7]
	v_fma_f64 v[8:9], -v[12:13], v[38:39], v[8:9]
	;; [unrolled: 1-line block ×4, first 2 shown]
	v_add_f64_e64 v[14:15], v[14:15], -v[46:47]
	v_add_f64_e64 v[16:17], v[16:17], -v[56:57]
	;; [unrolled: 1-line block ×4, first 2 shown]
	ds_store_b128 v1, v[14:17] offset:1040
	ds_store_b128 v1, v[6:9]
	ds_store_b128 v1, v[18:21] offset:4160
	ds_store_b128 v1, v[10:13] offset:2080
	s_wait_dscnt 0x0
	s_barrier_signal -1
	s_barrier_wait -1
	ds_load_b128 v[6:9], v3 offset:1040
	ds_load_b128 v[10:13], v3
	v_min_u32_e32 v14, 59, v0
	s_delay_alu instid0(VALU_DEP_1)
	v_lshlrev_b32_e32 v56, 4, v14
	ds_load_b128 v[14:17], v56 offset:1104
	ds_load_b128 v[18:21], v56 offset:64
	s_wait_dscnt 0x3
	v_mul_f64_e32 v[38:39], v[8:9], v[8:9]
	s_wait_dscnt 0x1
	v_mul_f64_e32 v[40:41], v[16:17], v[16:17]
	s_delay_alu instid0(VALU_DEP_2) | instskip(NEXT) | instid1(VALU_DEP_2)
	v_fmac_f64_e32 v[38:39], v[6:7], v[6:7]
	v_fmac_f64_e32 v[40:41], v[14:15], v[14:15]
	s_delay_alu instid0(VALU_DEP_2) | instskip(SKIP_1) | instid1(VALU_DEP_3)
	v_div_scale_f64 v[22:23], null, v[38:39], v[38:39], 1.0
	v_div_scale_f64 v[28:29], vcc_lo, 1.0, v[38:39], 1.0
	v_div_scale_f64 v[30:31], null, v[40:41], v[40:41], 1.0
	v_div_scale_f64 v[34:35], s0, 1.0, v[40:41], 1.0
	s_delay_alu instid0(VALU_DEP_4) | instskip(NEXT) | instid1(VALU_DEP_2)
	v_rcp_f64_e32 v[32:33], v[22:23]
	v_rcp_f64_e32 v[42:43], v[30:31]
	s_delay_alu instid0(TRANS32_DEP_2) | instskip(NEXT) | instid1(TRANS32_DEP_1)
	v_fma_f64 v[24:25], -v[22:23], v[32:33], 1.0
	v_fma_f64 v[26:27], -v[30:31], v[42:43], 1.0
	s_delay_alu instid0(VALU_DEP_2) | instskip(NEXT) | instid1(VALU_DEP_2)
	v_fmac_f64_e32 v[32:33], v[32:33], v[24:25]
	v_fmac_f64_e32 v[42:43], v[42:43], v[26:27]
	s_delay_alu instid0(VALU_DEP_2) | instskip(NEXT) | instid1(VALU_DEP_2)
	v_fma_f64 v[24:25], -v[22:23], v[32:33], 1.0
	v_fma_f64 v[26:27], -v[30:31], v[42:43], 1.0
	s_delay_alu instid0(VALU_DEP_2) | instskip(NEXT) | instid1(VALU_DEP_2)
	v_fmac_f64_e32 v[32:33], v[32:33], v[24:25]
	v_fmac_f64_e32 v[42:43], v[42:43], v[26:27]
	s_delay_alu instid0(VALU_DEP_2) | instskip(NEXT) | instid1(VALU_DEP_2)
	v_mul_f64_e32 v[36:37], v[28:29], v[32:33]
	v_mul_f64_e32 v[44:45], v[34:35], v[42:43]
	s_delay_alu instid0(VALU_DEP_2)
	v_fma_f64 v[46:47], -v[22:23], v[36:37], v[28:29]
	ds_load_b128 v[22:25], v1
	ds_load_b128 v[26:29], v1 offset:1040
	v_fma_f64 v[50:51], -v[30:31], v[44:45], v[34:35]
	s_wait_dscnt 0x1
	v_mul_f64_e64 v[48:49], v[8:9], -v[22:23]
	v_div_fmas_f64 v[46:47], v[46:47], v[32:33], v[36:37]
	ds_load_b128 v[30:33], v1 offset:2080
	ds_load_b128 v[34:37], v1 offset:4160
	s_mov_b32 vcc_lo, s0
	v_div_fmas_f64 v[42:43], v[50:51], v[42:43], v[44:45]
	v_mul_f64_e32 v[44:45], v[8:9], v[24:25]
	s_wait_dscnt 0x1
	v_mul_f64_e64 v[52:53], v[16:17], -v[30:31]
	v_fmac_f64_e32 v[48:49], v[24:25], v[6:7]
	v_div_fixup_f64 v[38:39], v[46:47], v[38:39], 1.0
	v_mul_f64_e32 v[46:47], v[16:17], v[32:33]
	v_div_fixup_f64 v[40:41], v[42:43], v[40:41], 1.0
	v_fmac_f64_e32 v[44:45], v[22:23], v[6:7]
	ds_load_b128 v[6:9], v3 offset:2080
	ds_load_b128 v[22:25], v3 offset:4160
	v_sub_nc_u32_e64 v3, v0, 8 clamp
	s_delay_alu instid0(VALU_DEP_1)
	v_lshlrev_b32_e32 v3, 4, v3
	v_fmac_f64_e32 v[52:53], v[32:33], v[14:15]
	v_mul_f64_e32 v[42:43], v[38:39], v[48:49]
	v_fmac_f64_e32 v[46:47], v[30:31], v[14:15]
	ds_load_b128 v[14:17], v56 offset:4224
	ds_load_b128 v[30:33], v56 offset:2144
	s_wait_dscnt 0x0
	s_barrier_signal -1
	s_barrier_wait -1
	v_mul_f64_e32 v[38:39], v[38:39], v[44:45]
	v_mul_f64_e32 v[48:49], v[40:41], v[52:53]
	v_mul_f64_e64 v[44:45], v[42:43], -v[8:9]
	v_mul_f64_e32 v[50:51], v[42:43], v[6:7]
	v_mul_f64_e64 v[52:53], v[42:43], -v[24:25]
	v_mul_f64_e32 v[54:55], v[42:43], v[22:23]
	v_mul_f64_e32 v[40:41], v[40:41], v[46:47]
	v_mul_f64_e64 v[46:47], v[48:49], -v[20:21]
	v_mul_f64_e32 v[56:57], v[48:49], v[18:19]
	v_mul_f64_e64 v[58:59], v[48:49], -v[16:17]
	v_mul_f64_e32 v[60:61], v[48:49], v[14:15]
	v_fmac_f64_e32 v[44:45], v[6:7], v[38:39]
	v_fmac_f64_e32 v[50:51], v[8:9], v[38:39]
	;; [unrolled: 1-line block ×4, first 2 shown]
	v_mul_f64_e32 v[6:7], v[42:43], v[12:13]
	v_mul_f64_e64 v[8:9], v[42:43], -v[10:11]
	v_mul_f64_e32 v[22:23], v[48:49], v[32:33]
	v_mul_f64_e64 v[24:25], v[48:49], -v[30:31]
	v_fmac_f64_e32 v[46:47], v[18:19], v[40:41]
	v_fmac_f64_e32 v[56:57], v[20:21], v[40:41]
	v_fmac_f64_e32 v[58:59], v[14:15], v[40:41]
	v_fmac_f64_e32 v[60:61], v[16:17], v[40:41]
	v_add_f64_e64 v[14:15], v[26:27], -v[44:45]
	v_add_f64_e64 v[16:17], v[28:29], -v[50:51]
	v_add_f64_e64 v[18:19], v[34:35], -v[52:53]
	v_add_f64_e64 v[20:21], v[36:37], -v[54:55]
	v_fma_f64 v[6:7], -v[10:11], v[38:39], v[6:7]
	v_fma_f64 v[8:9], -v[12:13], v[38:39], v[8:9]
	;; [unrolled: 1-line block ×4, first 2 shown]
	v_add_f64_e64 v[14:15], v[14:15], -v[46:47]
	v_add_f64_e64 v[16:17], v[16:17], -v[56:57]
	;; [unrolled: 1-line block ×4, first 2 shown]
	ds_store_b128 v1, v[14:17] offset:1040
	ds_store_b128 v1, v[6:9]
	ds_store_b128 v1, v[18:21] offset:4160
	ds_store_b128 v1, v[10:13] offset:2080
	s_wait_dscnt 0x0
	s_barrier_signal -1
	s_barrier_wait -1
	ds_load_b128 v[6:9], v3 offset:1040
	ds_load_b128 v[10:13], v3
	v_min_u32_e32 v14, 55, v0
	s_delay_alu instid0(VALU_DEP_1)
	v_lshlrev_b32_e32 v56, 4, v14
	ds_load_b128 v[14:17], v56 offset:1168
	ds_load_b128 v[18:21], v56 offset:128
	s_wait_dscnt 0x3
	v_mul_f64_e32 v[38:39], v[8:9], v[8:9]
	s_wait_dscnt 0x1
	v_mul_f64_e32 v[40:41], v[16:17], v[16:17]
	s_delay_alu instid0(VALU_DEP_2) | instskip(NEXT) | instid1(VALU_DEP_2)
	v_fmac_f64_e32 v[38:39], v[6:7], v[6:7]
	v_fmac_f64_e32 v[40:41], v[14:15], v[14:15]
	s_delay_alu instid0(VALU_DEP_2) | instskip(SKIP_1) | instid1(VALU_DEP_3)
	v_div_scale_f64 v[22:23], null, v[38:39], v[38:39], 1.0
	v_div_scale_f64 v[28:29], vcc_lo, 1.0, v[38:39], 1.0
	v_div_scale_f64 v[30:31], null, v[40:41], v[40:41], 1.0
	v_div_scale_f64 v[34:35], s0, 1.0, v[40:41], 1.0
	s_delay_alu instid0(VALU_DEP_4) | instskip(NEXT) | instid1(VALU_DEP_2)
	v_rcp_f64_e32 v[32:33], v[22:23]
	v_rcp_f64_e32 v[42:43], v[30:31]
	s_delay_alu instid0(TRANS32_DEP_2) | instskip(NEXT) | instid1(TRANS32_DEP_1)
	v_fma_f64 v[24:25], -v[22:23], v[32:33], 1.0
	v_fma_f64 v[26:27], -v[30:31], v[42:43], 1.0
	s_delay_alu instid0(VALU_DEP_2) | instskip(NEXT) | instid1(VALU_DEP_2)
	v_fmac_f64_e32 v[32:33], v[32:33], v[24:25]
	v_fmac_f64_e32 v[42:43], v[42:43], v[26:27]
	s_delay_alu instid0(VALU_DEP_2) | instskip(NEXT) | instid1(VALU_DEP_2)
	v_fma_f64 v[24:25], -v[22:23], v[32:33], 1.0
	v_fma_f64 v[26:27], -v[30:31], v[42:43], 1.0
	s_delay_alu instid0(VALU_DEP_2) | instskip(NEXT) | instid1(VALU_DEP_2)
	v_fmac_f64_e32 v[32:33], v[32:33], v[24:25]
	v_fmac_f64_e32 v[42:43], v[42:43], v[26:27]
	s_delay_alu instid0(VALU_DEP_2) | instskip(NEXT) | instid1(VALU_DEP_2)
	v_mul_f64_e32 v[36:37], v[28:29], v[32:33]
	v_mul_f64_e32 v[44:45], v[34:35], v[42:43]
	s_delay_alu instid0(VALU_DEP_2)
	v_fma_f64 v[46:47], -v[22:23], v[36:37], v[28:29]
	ds_load_b128 v[22:25], v1
	ds_load_b128 v[26:29], v1 offset:1040
	v_fma_f64 v[50:51], -v[30:31], v[44:45], v[34:35]
	s_wait_dscnt 0x1
	v_mul_f64_e64 v[48:49], v[8:9], -v[22:23]
	v_div_fmas_f64 v[46:47], v[46:47], v[32:33], v[36:37]
	ds_load_b128 v[30:33], v1 offset:2080
	ds_load_b128 v[34:37], v1 offset:4160
	s_mov_b32 vcc_lo, s0
	v_div_fmas_f64 v[42:43], v[50:51], v[42:43], v[44:45]
	v_mul_f64_e32 v[44:45], v[8:9], v[24:25]
	s_wait_dscnt 0x1
	v_mul_f64_e64 v[52:53], v[16:17], -v[30:31]
	v_fmac_f64_e32 v[48:49], v[24:25], v[6:7]
	v_div_fixup_f64 v[38:39], v[46:47], v[38:39], 1.0
	v_mul_f64_e32 v[46:47], v[16:17], v[32:33]
	v_div_fixup_f64 v[40:41], v[42:43], v[40:41], 1.0
	v_fmac_f64_e32 v[44:45], v[22:23], v[6:7]
	ds_load_b128 v[6:9], v3 offset:2080
	ds_load_b128 v[22:25], v3 offset:4160
	v_sub_nc_u32_e64 v3, v0, 16 clamp
	s_delay_alu instid0(VALU_DEP_1)
	v_lshlrev_b32_e32 v3, 4, v3
	v_fmac_f64_e32 v[52:53], v[32:33], v[14:15]
	v_mul_f64_e32 v[42:43], v[38:39], v[48:49]
	v_fmac_f64_e32 v[46:47], v[30:31], v[14:15]
	ds_load_b128 v[14:17], v56 offset:4288
	ds_load_b128 v[30:33], v56 offset:2208
	s_wait_dscnt 0x0
	s_barrier_signal -1
	s_barrier_wait -1
	v_mul_f64_e32 v[38:39], v[38:39], v[44:45]
	v_mul_f64_e32 v[48:49], v[40:41], v[52:53]
	v_mul_f64_e64 v[44:45], v[42:43], -v[8:9]
	v_mul_f64_e32 v[50:51], v[42:43], v[6:7]
	v_mul_f64_e64 v[52:53], v[42:43], -v[24:25]
	v_mul_f64_e32 v[54:55], v[42:43], v[22:23]
	v_mul_f64_e32 v[40:41], v[40:41], v[46:47]
	v_mul_f64_e64 v[46:47], v[48:49], -v[20:21]
	v_mul_f64_e32 v[56:57], v[48:49], v[18:19]
	v_mul_f64_e64 v[58:59], v[48:49], -v[16:17]
	v_mul_f64_e32 v[60:61], v[48:49], v[14:15]
	v_fmac_f64_e32 v[44:45], v[6:7], v[38:39]
	v_fmac_f64_e32 v[50:51], v[8:9], v[38:39]
	;; [unrolled: 1-line block ×4, first 2 shown]
	v_mul_f64_e32 v[6:7], v[42:43], v[12:13]
	v_mul_f64_e64 v[8:9], v[42:43], -v[10:11]
	v_mul_f64_e32 v[22:23], v[48:49], v[32:33]
	v_mul_f64_e64 v[24:25], v[48:49], -v[30:31]
	v_fmac_f64_e32 v[46:47], v[18:19], v[40:41]
	v_fmac_f64_e32 v[56:57], v[20:21], v[40:41]
	;; [unrolled: 1-line block ×4, first 2 shown]
	v_add_f64_e64 v[14:15], v[26:27], -v[44:45]
	v_add_f64_e64 v[16:17], v[28:29], -v[50:51]
	;; [unrolled: 1-line block ×4, first 2 shown]
	v_fma_f64 v[6:7], -v[10:11], v[38:39], v[6:7]
	v_fma_f64 v[8:9], -v[12:13], v[38:39], v[8:9]
	;; [unrolled: 1-line block ×4, first 2 shown]
	v_add_f64_e64 v[14:15], v[14:15], -v[46:47]
	v_add_f64_e64 v[16:17], v[16:17], -v[56:57]
	;; [unrolled: 1-line block ×4, first 2 shown]
	ds_store_b128 v1, v[14:17] offset:1040
	ds_store_b128 v1, v[6:9]
	ds_store_b128 v1, v[18:21] offset:4160
	ds_store_b128 v1, v[10:13] offset:2080
	s_wait_dscnt 0x0
	s_barrier_signal -1
	s_barrier_wait -1
	ds_load_b128 v[6:9], v3 offset:1040
	ds_load_b128 v[10:13], v3
	v_min_u32_e32 v14, 47, v0
	s_delay_alu instid0(VALU_DEP_1)
	v_lshlrev_b32_e32 v56, 4, v14
	ds_load_b128 v[14:17], v56 offset:1296
	ds_load_b128 v[18:21], v56 offset:256
	s_wait_dscnt 0x3
	v_mul_f64_e32 v[38:39], v[8:9], v[8:9]
	s_wait_dscnt 0x1
	v_mul_f64_e32 v[40:41], v[16:17], v[16:17]
	s_delay_alu instid0(VALU_DEP_2) | instskip(NEXT) | instid1(VALU_DEP_2)
	v_fmac_f64_e32 v[38:39], v[6:7], v[6:7]
	v_fmac_f64_e32 v[40:41], v[14:15], v[14:15]
	s_delay_alu instid0(VALU_DEP_2) | instskip(SKIP_1) | instid1(VALU_DEP_3)
	v_div_scale_f64 v[22:23], null, v[38:39], v[38:39], 1.0
	v_div_scale_f64 v[28:29], vcc_lo, 1.0, v[38:39], 1.0
	v_div_scale_f64 v[30:31], null, v[40:41], v[40:41], 1.0
	v_div_scale_f64 v[34:35], s0, 1.0, v[40:41], 1.0
	s_delay_alu instid0(VALU_DEP_4) | instskip(NEXT) | instid1(VALU_DEP_2)
	v_rcp_f64_e32 v[32:33], v[22:23]
	v_rcp_f64_e32 v[42:43], v[30:31]
	s_delay_alu instid0(TRANS32_DEP_2) | instskip(NEXT) | instid1(TRANS32_DEP_1)
	v_fma_f64 v[24:25], -v[22:23], v[32:33], 1.0
	v_fma_f64 v[26:27], -v[30:31], v[42:43], 1.0
	s_delay_alu instid0(VALU_DEP_2) | instskip(NEXT) | instid1(VALU_DEP_2)
	v_fmac_f64_e32 v[32:33], v[32:33], v[24:25]
	v_fmac_f64_e32 v[42:43], v[42:43], v[26:27]
	s_delay_alu instid0(VALU_DEP_2) | instskip(NEXT) | instid1(VALU_DEP_2)
	v_fma_f64 v[24:25], -v[22:23], v[32:33], 1.0
	v_fma_f64 v[26:27], -v[30:31], v[42:43], 1.0
	s_delay_alu instid0(VALU_DEP_2) | instskip(NEXT) | instid1(VALU_DEP_2)
	v_fmac_f64_e32 v[32:33], v[32:33], v[24:25]
	v_fmac_f64_e32 v[42:43], v[42:43], v[26:27]
	s_delay_alu instid0(VALU_DEP_2) | instskip(NEXT) | instid1(VALU_DEP_2)
	v_mul_f64_e32 v[36:37], v[28:29], v[32:33]
	v_mul_f64_e32 v[44:45], v[34:35], v[42:43]
	s_delay_alu instid0(VALU_DEP_2)
	v_fma_f64 v[46:47], -v[22:23], v[36:37], v[28:29]
	ds_load_b128 v[22:25], v1
	ds_load_b128 v[26:29], v1 offset:1040
	v_fma_f64 v[50:51], -v[30:31], v[44:45], v[34:35]
	s_wait_dscnt 0x1
	v_mul_f64_e64 v[48:49], v[8:9], -v[22:23]
	v_div_fmas_f64 v[46:47], v[46:47], v[32:33], v[36:37]
	ds_load_b128 v[30:33], v1 offset:2080
	ds_load_b128 v[34:37], v1 offset:4160
	s_mov_b32 vcc_lo, s0
	s_mov_b32 s0, exec_lo
	v_div_fmas_f64 v[42:43], v[50:51], v[42:43], v[44:45]
	v_mul_f64_e32 v[44:45], v[8:9], v[24:25]
	s_wait_dscnt 0x1
	v_mul_f64_e64 v[52:53], v[16:17], -v[30:31]
	v_fmac_f64_e32 v[48:49], v[24:25], v[6:7]
	v_div_fixup_f64 v[38:39], v[46:47], v[38:39], 1.0
	v_mul_f64_e32 v[46:47], v[16:17], v[32:33]
	v_div_fixup_f64 v[40:41], v[42:43], v[40:41], 1.0
	v_fmac_f64_e32 v[44:45], v[22:23], v[6:7]
	ds_load_b128 v[6:9], v3 offset:2080
	ds_load_b128 v[22:25], v3 offset:4160
	v_ashrrev_i32_e32 v3, 31, v2
	s_delay_alu instid0(VALU_DEP_1)
	v_lshl_add_u64 v[2:3], v[2:3], 4, s[10:11]
	v_fmac_f64_e32 v[52:53], v[32:33], v[14:15]
	v_mul_f64_e32 v[42:43], v[38:39], v[48:49]
	v_fmac_f64_e32 v[46:47], v[30:31], v[14:15]
	ds_load_b128 v[14:17], v56 offset:4416
	ds_load_b128 v[30:33], v56 offset:2336
	s_wait_dscnt 0x0
	s_barrier_signal -1
	s_barrier_wait -1
	v_mul_f64_e32 v[38:39], v[38:39], v[44:45]
	v_mul_f64_e32 v[48:49], v[40:41], v[52:53]
	v_mul_f64_e64 v[44:45], v[42:43], -v[8:9]
	v_mul_f64_e32 v[50:51], v[42:43], v[6:7]
	v_mul_f64_e64 v[52:53], v[42:43], -v[24:25]
	v_mul_f64_e32 v[54:55], v[42:43], v[22:23]
	v_mul_f64_e32 v[40:41], v[40:41], v[46:47]
	v_mul_f64_e64 v[46:47], v[48:49], -v[20:21]
	v_mul_f64_e32 v[56:57], v[48:49], v[18:19]
	v_mul_f64_e64 v[58:59], v[48:49], -v[16:17]
	v_mul_f64_e32 v[60:61], v[48:49], v[14:15]
	v_fmac_f64_e32 v[44:45], v[6:7], v[38:39]
	v_fmac_f64_e32 v[50:51], v[8:9], v[38:39]
	;; [unrolled: 1-line block ×4, first 2 shown]
	v_mul_f64_e32 v[6:7], v[42:43], v[12:13]
	v_mul_f64_e64 v[8:9], v[42:43], -v[10:11]
	v_mul_f64_e32 v[22:23], v[48:49], v[32:33]
	v_mul_f64_e64 v[24:25], v[48:49], -v[30:31]
	v_fmac_f64_e32 v[46:47], v[18:19], v[40:41]
	v_fmac_f64_e32 v[56:57], v[20:21], v[40:41]
	;; [unrolled: 1-line block ×4, first 2 shown]
	v_add_f64_e64 v[14:15], v[26:27], -v[44:45]
	v_add_f64_e64 v[16:17], v[28:29], -v[50:51]
	v_add_f64_e64 v[18:19], v[34:35], -v[52:53]
	v_add_f64_e64 v[20:21], v[36:37], -v[54:55]
	v_fma_f64 v[6:7], -v[10:11], v[38:39], v[6:7]
	v_fma_f64 v[8:9], -v[12:13], v[38:39], v[8:9]
	;; [unrolled: 1-line block ×4, first 2 shown]
	v_add_f64_e64 v[14:15], v[14:15], -v[46:47]
	v_add_f64_e64 v[16:17], v[16:17], -v[56:57]
	;; [unrolled: 1-line block ×4, first 2 shown]
	ds_store_b128 v1, v[14:17] offset:1040
	ds_store_b128 v1, v[6:9]
	ds_store_b128 v1, v[18:21] offset:4160
	ds_store_b128 v1, v[10:13] offset:2080
	s_wait_dscnt 0x0
	s_barrier_signal -1
	s_barrier_wait -1
	v_cmpx_gt_u32_e32 32, v0
	s_cbranch_execz .LBB68_2
; %bb.1:
	v_add_nc_u32_e32 v14, 0x410, v1
	ds_load_b128 v[6:9], v14
	ds_load_b128 v[10:13], v1 offset:512
	ds_load_b128 v[14:17], v14 offset:512
	ds_load_b128 v[18:21], v5
	s_wait_dscnt 0x1
	v_mul_f64_e32 v[22:23], v[8:9], v[14:15]
	s_wait_dscnt 0x0
	v_mul_f64_e32 v[24:25], v[12:13], v[18:19]
	v_mul_f64_e64 v[26:27], v[8:9], -v[16:17]
	v_mul_f64_e64 v[28:29], v[12:13], -v[20:21]
	s_delay_alu instid0(VALU_DEP_4) | instskip(NEXT) | instid1(VALU_DEP_4)
	v_fmac_f64_e32 v[22:23], v[16:17], v[6:7]
	v_fmac_f64_e32 v[24:25], v[20:21], v[10:11]
	s_delay_alu instid0(VALU_DEP_4) | instskip(NEXT) | instid1(VALU_DEP_4)
	v_fmac_f64_e32 v[26:27], v[14:15], v[6:7]
	v_fmac_f64_e32 v[28:29], v[18:19], v[10:11]
	s_delay_alu instid0(VALU_DEP_3) | instskip(NEXT) | instid1(VALU_DEP_2)
	v_add_f64_e64 v[30:31], v[22:23], -v[24:25]
	v_add_f64_e64 v[32:33], v[26:27], -v[28:29]
	s_delay_alu instid0(VALU_DEP_2) | instskip(NEXT) | instid1(VALU_DEP_1)
	v_mul_f64_e32 v[34:35], v[30:31], v[30:31]
	v_fmac_f64_e32 v[34:35], v[32:33], v[32:33]
	s_delay_alu instid0(VALU_DEP_1) | instskip(SKIP_1) | instid1(VALU_DEP_2)
	v_div_scale_f64 v[22:23], null, v[34:35], v[34:35], 1.0
	v_div_scale_f64 v[26:27], vcc_lo, 1.0, v[34:35], 1.0
	v_rcp_f64_e32 v[36:37], v[22:23]
	v_nop
	s_delay_alu instid0(TRANS32_DEP_1) | instskip(NEXT) | instid1(VALU_DEP_1)
	v_fma_f64 v[24:25], -v[22:23], v[36:37], 1.0
	v_fmac_f64_e32 v[36:37], v[36:37], v[24:25]
	s_delay_alu instid0(VALU_DEP_1) | instskip(NEXT) | instid1(VALU_DEP_1)
	v_fma_f64 v[24:25], -v[22:23], v[36:37], 1.0
	v_fmac_f64_e32 v[36:37], v[36:37], v[24:25]
	s_delay_alu instid0(VALU_DEP_1) | instskip(NEXT) | instid1(VALU_DEP_1)
	v_mul_f64_e32 v[38:39], v[26:27], v[36:37]
	v_fma_f64 v[40:41], -v[22:23], v[38:39], v[26:27]
	ds_load_b128 v[22:25], v4
	ds_load_b128 v[26:29], v4 offset:512
	s_wait_dscnt 0x1
	v_mul_f64_e64 v[4:5], v[24:25], -v[16:17]
	v_mul_f64_e32 v[42:43], v[14:15], v[24:25]
	s_wait_dscnt 0x0
	v_mul_f64_e64 v[44:45], v[28:29], -v[20:21]
	v_mul_f64_e32 v[46:47], v[18:19], v[28:29]
	v_mul_f64_e64 v[48:49], v[8:9], -v[28:29]
	v_mul_f64_e32 v[8:9], v[8:9], v[26:27]
	v_div_fmas_f64 v[36:37], v[40:41], v[36:37], v[38:39]
	v_mul_f64_e32 v[38:39], v[12:13], v[22:23]
	v_mul_f64_e64 v[12:13], v[12:13], -v[24:25]
	v_fmac_f64_e32 v[4:5], v[14:15], v[22:23]
	v_fmac_f64_e32 v[42:43], v[16:17], v[22:23]
	;; [unrolled: 1-line block ×4, first 2 shown]
	v_fma_f64 v[14:15], v[32:33], 0, -v[30:31]
	v_fmac_f64_e32 v[48:49], v[26:27], v[6:7]
	v_fmac_f64_e32 v[8:9], v[28:29], v[6:7]
	v_fma_f64 v[6:7], 0, v[30:31], v[32:33]
	v_div_fixup_f64 v[16:17], v[36:37], v[34:35], 1.0
	v_fmac_f64_e32 v[38:39], v[24:25], v[10:11]
	v_fmac_f64_e32 v[12:13], v[22:23], v[10:11]
	v_add_f64_e64 v[18:19], v[42:43], -v[46:47]
	s_delay_alu instid0(VALU_DEP_4)
	v_mul_f64_e32 v[10:11], v[14:15], v[16:17]
	v_add_f64_e64 v[14:15], v[4:5], -v[44:45]
	v_add_f64_e64 v[20:21], v[8:9], -v[38:39]
	;; [unrolled: 1-line block ×3, first 2 shown]
	v_mul_f64_e32 v[16:17], v[6:7], v[16:17]
	v_mul_f64_e64 v[4:5], v[10:11], -v[18:19]
	v_mul_f64_e32 v[6:7], v[10:11], v[14:15]
	v_mul_f64_e64 v[8:9], v[10:11], -v[20:21]
	v_mul_f64_e32 v[10:11], v[10:11], v[12:13]
	s_delay_alu instid0(VALU_DEP_4) | instskip(NEXT) | instid1(VALU_DEP_4)
	v_fmac_f64_e32 v[4:5], v[14:15], v[16:17]
	v_fmac_f64_e32 v[6:7], v[18:19], v[16:17]
	s_delay_alu instid0(VALU_DEP_4) | instskip(NEXT) | instid1(VALU_DEP_4)
	v_fmac_f64_e32 v[8:9], v[12:13], v[16:17]
	v_fmac_f64_e32 v[10:11], v[20:21], v[16:17]
	ds_store_b128 v1, v[4:7] offset:3120
	ds_store_b128 v1, v[8:11] offset:3632
.LBB68_2:
	s_or_b32 exec_lo, exec_lo, s0
	v_lshl_add_u32 v0, v0, 4, 0xc30
	s_wait_dscnt 0x0
	s_barrier_signal -1
	s_barrier_wait -1
	ds_load_2addr_b64 v[4:7], v0 offset1:1
	s_wait_dscnt 0x0
	global_store_b128 v[2:3], v[4:7], off
	s_endpgm
	.section	.rodata,"a",@progbits
	.p2align	6, 0x0
	.amdhsa_kernel _ZN9rocsparseL49gtsv_nopivot_strided_batch_pcr_pow2_shared_kernelILj64E21rocsparse_complex_numIdEEEviiiPKT0_S5_S5_PS3_
		.amdhsa_group_segment_fixed_size 5200
		.amdhsa_private_segment_fixed_size 0
		.amdhsa_kernarg_size 48
		.amdhsa_user_sgpr_count 2
		.amdhsa_user_sgpr_dispatch_ptr 0
		.amdhsa_user_sgpr_queue_ptr 0
		.amdhsa_user_sgpr_kernarg_segment_ptr 1
		.amdhsa_user_sgpr_dispatch_id 0
		.amdhsa_user_sgpr_kernarg_preload_length 0
		.amdhsa_user_sgpr_kernarg_preload_offset 0
		.amdhsa_user_sgpr_private_segment_size 0
		.amdhsa_wavefront_size32 1
		.amdhsa_uses_dynamic_stack 0
		.amdhsa_enable_private_segment 0
		.amdhsa_system_sgpr_workgroup_id_x 1
		.amdhsa_system_sgpr_workgroup_id_y 0
		.amdhsa_system_sgpr_workgroup_id_z 0
		.amdhsa_system_sgpr_workgroup_info 0
		.amdhsa_system_vgpr_workitem_id 0
		.amdhsa_next_free_vgpr 62
		.amdhsa_next_free_sgpr 12
		.amdhsa_named_barrier_count 0
		.amdhsa_reserve_vcc 1
		.amdhsa_float_round_mode_32 0
		.amdhsa_float_round_mode_16_64 0
		.amdhsa_float_denorm_mode_32 3
		.amdhsa_float_denorm_mode_16_64 3
		.amdhsa_fp16_overflow 0
		.amdhsa_memory_ordered 1
		.amdhsa_forward_progress 1
		.amdhsa_inst_pref_size 32
		.amdhsa_round_robin_scheduling 0
		.amdhsa_exception_fp_ieee_invalid_op 0
		.amdhsa_exception_fp_denorm_src 0
		.amdhsa_exception_fp_ieee_div_zero 0
		.amdhsa_exception_fp_ieee_overflow 0
		.amdhsa_exception_fp_ieee_underflow 0
		.amdhsa_exception_fp_ieee_inexact 0
		.amdhsa_exception_int_div_zero 0
	.end_amdhsa_kernel
	.section	.text._ZN9rocsparseL49gtsv_nopivot_strided_batch_pcr_pow2_shared_kernelILj64E21rocsparse_complex_numIdEEEviiiPKT0_S5_S5_PS3_,"axG",@progbits,_ZN9rocsparseL49gtsv_nopivot_strided_batch_pcr_pow2_shared_kernelILj64E21rocsparse_complex_numIdEEEviiiPKT0_S5_S5_PS3_,comdat
.Lfunc_end68:
	.size	_ZN9rocsparseL49gtsv_nopivot_strided_batch_pcr_pow2_shared_kernelILj64E21rocsparse_complex_numIdEEEviiiPKT0_S5_S5_PS3_, .Lfunc_end68-_ZN9rocsparseL49gtsv_nopivot_strided_batch_pcr_pow2_shared_kernelILj64E21rocsparse_complex_numIdEEEviiiPKT0_S5_S5_PS3_
                                        ; -- End function
	.set _ZN9rocsparseL49gtsv_nopivot_strided_batch_pcr_pow2_shared_kernelILj64E21rocsparse_complex_numIdEEEviiiPKT0_S5_S5_PS3_.num_vgpr, 62
	.set _ZN9rocsparseL49gtsv_nopivot_strided_batch_pcr_pow2_shared_kernelILj64E21rocsparse_complex_numIdEEEviiiPKT0_S5_S5_PS3_.num_agpr, 0
	.set _ZN9rocsparseL49gtsv_nopivot_strided_batch_pcr_pow2_shared_kernelILj64E21rocsparse_complex_numIdEEEviiiPKT0_S5_S5_PS3_.numbered_sgpr, 12
	.set _ZN9rocsparseL49gtsv_nopivot_strided_batch_pcr_pow2_shared_kernelILj64E21rocsparse_complex_numIdEEEviiiPKT0_S5_S5_PS3_.num_named_barrier, 0
	.set _ZN9rocsparseL49gtsv_nopivot_strided_batch_pcr_pow2_shared_kernelILj64E21rocsparse_complex_numIdEEEviiiPKT0_S5_S5_PS3_.private_seg_size, 0
	.set _ZN9rocsparseL49gtsv_nopivot_strided_batch_pcr_pow2_shared_kernelILj64E21rocsparse_complex_numIdEEEviiiPKT0_S5_S5_PS3_.uses_vcc, 1
	.set _ZN9rocsparseL49gtsv_nopivot_strided_batch_pcr_pow2_shared_kernelILj64E21rocsparse_complex_numIdEEEviiiPKT0_S5_S5_PS3_.uses_flat_scratch, 0
	.set _ZN9rocsparseL49gtsv_nopivot_strided_batch_pcr_pow2_shared_kernelILj64E21rocsparse_complex_numIdEEEviiiPKT0_S5_S5_PS3_.has_dyn_sized_stack, 0
	.set _ZN9rocsparseL49gtsv_nopivot_strided_batch_pcr_pow2_shared_kernelILj64E21rocsparse_complex_numIdEEEviiiPKT0_S5_S5_PS3_.has_recursion, 0
	.set _ZN9rocsparseL49gtsv_nopivot_strided_batch_pcr_pow2_shared_kernelILj64E21rocsparse_complex_numIdEEEviiiPKT0_S5_S5_PS3_.has_indirect_call, 0
	.section	.AMDGPU.csdata,"",@progbits
; Kernel info:
; codeLenInByte = 3996
; TotalNumSgprs: 14
; NumVgprs: 62
; ScratchSize: 0
; MemoryBound: 0
; FloatMode: 240
; IeeeMode: 1
; LDSByteSize: 5200 bytes/workgroup (compile time only)
; SGPRBlocks: 0
; VGPRBlocks: 3
; NumSGPRsForWavesPerEU: 14
; NumVGPRsForWavesPerEU: 62
; NamedBarCnt: 0
; Occupancy: 16
; WaveLimiterHint : 0
; COMPUTE_PGM_RSRC2:SCRATCH_EN: 0
; COMPUTE_PGM_RSRC2:USER_SGPR: 2
; COMPUTE_PGM_RSRC2:TRAP_HANDLER: 0
; COMPUTE_PGM_RSRC2:TGID_X_EN: 1
; COMPUTE_PGM_RSRC2:TGID_Y_EN: 0
; COMPUTE_PGM_RSRC2:TGID_Z_EN: 0
; COMPUTE_PGM_RSRC2:TIDIG_COMP_CNT: 0
	.section	.text._ZN9rocsparseL51gtsv_nopivot_strided_batch_crpcr_pow2_shared_kernelILj64ELj64E21rocsparse_complex_numIdEEEviiiPKT1_S5_S5_PS3_,"axG",@progbits,_ZN9rocsparseL51gtsv_nopivot_strided_batch_crpcr_pow2_shared_kernelILj64ELj64E21rocsparse_complex_numIdEEEviiiPKT1_S5_S5_PS3_,comdat
	.globl	_ZN9rocsparseL51gtsv_nopivot_strided_batch_crpcr_pow2_shared_kernelILj64ELj64E21rocsparse_complex_numIdEEEviiiPKT1_S5_S5_PS3_ ; -- Begin function _ZN9rocsparseL51gtsv_nopivot_strided_batch_crpcr_pow2_shared_kernelILj64ELj64E21rocsparse_complex_numIdEEEviiiPKT1_S5_S5_PS3_
	.p2align	8
	.type	_ZN9rocsparseL51gtsv_nopivot_strided_batch_crpcr_pow2_shared_kernelILj64ELj64E21rocsparse_complex_numIdEEEviiiPKT1_S5_S5_PS3_,@function
_ZN9rocsparseL51gtsv_nopivot_strided_batch_crpcr_pow2_shared_kernelILj64ELj64E21rocsparse_complex_numIdEEEviiiPKT1_S5_S5_PS3_: ; @_ZN9rocsparseL51gtsv_nopivot_strided_batch_crpcr_pow2_shared_kernelILj64ELj64E21rocsparse_complex_numIdEEEviiiPKT1_S5_S5_PS3_
; %bb.0:
	s_load_b32 s2, s[0:1], 0x8
	s_bfe_u32 s3, ttmp6, 0x4000c
	s_and_b32 s12, ttmp6, 15
	s_add_co_i32 s3, s3, 1
	s_load_b256 s[4:11], s[0:1], 0x10
	s_wait_xcnt 0x0
	s_mul_i32 s0, ttmp9, s3
	s_getreg_b32 s1, hwreg(HW_REG_IB_STS2, 6, 4)
	s_add_co_i32 s12, s12, s0
	s_cmp_eq_u32 s1, 0
	v_lshlrev_b32_e32 v1, 1, v0
	s_cselect_b32 s0, ttmp9, s12
	v_lshlrev_b32_e32 v22, 4, v0
	s_delay_alu instid0(VALU_DEP_1)
	v_or_b32_e32 v4, 0x800, v22
	v_or_b32_e32 v3, 0x1000, v22
	;; [unrolled: 1-line block ×4, first 2 shown]
	s_wait_kmcnt 0x0
	v_mad_u32 v18, s2, s0, v0
	v_cmp_gt_u32_e64 s0, 64, v0
	v_or_b32_e32 v19, 0x1400, v22
	v_or_b32_e32 v21, 0x2400, v22
	s_delay_alu instid0(VALU_DEP_4)
	v_add_nc_u32_e32 v20, 64, v18
	s_clause 0x4
	global_load_b128 v[6:9], v18, s[6:7] scale_offset
	global_load_b128 v[10:13], v18, s[8:9] scale_offset
	;; [unrolled: 1-line block ×6, first 2 shown]
	s_clause 0x1
	global_load_b128 v[36:39], v20, s[8:9] scale_offset
	global_load_b128 v[40:43], v20, s[10:11] scale_offset
	s_wait_loadcnt 0x7
	ds_store_2addr_b64 v4, v[6:7], v[8:9] offset1:1
	s_wait_loadcnt 0x6
	ds_store_2addr_b64 v3, v[10:11], v[12:13] offset1:1
	;; [unrolled: 2-line block ×3, first 2 shown]
	s_wait_loadcnt 0x4
	ds_store_2addr_b64 v22, v[24:25], v[26:27] offset0:128 offset1:129
	s_wait_loadcnt 0x3
	ds_store_2addr_b64 v5, v[28:29], v[30:31] offset1:1
	s_wait_loadcnt 0x2
	ds_store_2addr_b64 v2, v[32:33], v[34:35] offset1:1
	s_wait_loadcnt 0x1
	ds_store_2addr_b64 v19, v[36:37], v[38:39] offset1:1
	s_wait_loadcnt 0x0
	ds_store_2addr_b64 v21, v[40:41], v[42:43] offset1:1
	s_wait_dscnt 0x0
	s_barrier_signal -1
	s_barrier_wait -1
	s_and_saveexec_b32 s2, s0
	s_cbranch_execz .LBB69_2
; %bb.1:
	v_min_u32_e32 v12, 0x7d, v1
	v_dual_add_nc_u32 v19, v4, v22 :: v_dual_add_nc_u32 v23, v22, v22
	s_delay_alu instid0(VALU_DEP_2)
	v_lshlrev_b32_e32 v21, 4, v12
	ds_load_b128 v[4:7], v19
	ds_load_b128 v[8:11], v19 offset:16
	ds_load_b128 v[12:15], v21 offset:2080
	;; [unrolled: 1-line block ×3, first 2 shown]
	s_wait_dscnt 0x3
	v_mul_f64_e32 v[16:17], v[6:7], v[6:7]
	s_wait_dscnt 0x1
	v_mul_f64_e32 v[36:37], v[14:15], v[14:15]
	s_delay_alu instid0(VALU_DEP_2) | instskip(NEXT) | instid1(VALU_DEP_2)
	v_fmac_f64_e32 v[16:17], v[4:5], v[4:5]
	v_fmac_f64_e32 v[36:37], v[12:13], v[12:13]
	s_delay_alu instid0(VALU_DEP_2) | instskip(SKIP_1) | instid1(VALU_DEP_3)
	v_div_scale_f64 v[28:29], null, v[16:17], v[16:17], 1.0
	v_div_scale_f64 v[42:43], vcc_lo, 1.0, v[16:17], 1.0
	v_div_scale_f64 v[32:33], null, v[36:37], v[36:37], 1.0
	v_div_scale_f64 v[44:45], s1, 1.0, v[36:37], 1.0
	s_delay_alu instid0(VALU_DEP_4) | instskip(NEXT) | instid1(VALU_DEP_2)
	v_rcp_f64_e32 v[34:35], v[28:29]
	v_rcp_f64_e32 v[38:39], v[32:33]
	s_delay_alu instid0(TRANS32_DEP_2) | instskip(NEXT) | instid1(TRANS32_DEP_1)
	v_fma_f64 v[30:31], -v[28:29], v[34:35], 1.0
	v_fma_f64 v[40:41], -v[32:33], v[38:39], 1.0
	s_delay_alu instid0(VALU_DEP_2) | instskip(NEXT) | instid1(VALU_DEP_2)
	v_fmac_f64_e32 v[34:35], v[34:35], v[30:31]
	v_fmac_f64_e32 v[38:39], v[38:39], v[40:41]
	s_delay_alu instid0(VALU_DEP_2) | instskip(NEXT) | instid1(VALU_DEP_2)
	v_fma_f64 v[30:31], -v[28:29], v[34:35], 1.0
	v_fma_f64 v[40:41], -v[32:33], v[38:39], 1.0
	s_delay_alu instid0(VALU_DEP_2) | instskip(NEXT) | instid1(VALU_DEP_2)
	v_fmac_f64_e32 v[34:35], v[34:35], v[30:31]
	v_fmac_f64_e32 v[38:39], v[38:39], v[40:41]
	s_delay_alu instid0(VALU_DEP_2) | instskip(NEXT) | instid1(VALU_DEP_2)
	v_mul_f64_e32 v[40:41], v[42:43], v[34:35]
	v_mul_f64_e32 v[46:47], v[44:45], v[38:39]
	s_delay_alu instid0(VALU_DEP_2) | instskip(SKIP_4) | instid1(VALU_DEP_2)
	v_fma_f64 v[42:43], -v[28:29], v[40:41], v[42:43]
	ds_load_b128 v[28:31], v23 offset:16
	v_fma_f64 v[44:45], -v[32:33], v[46:47], v[44:45]
	v_div_fmas_f64 v[40:41], v[42:43], v[34:35], v[40:41]
	s_mov_b32 vcc_lo, s1
	v_div_fmas_f64 v[38:39], v[44:45], v[38:39], v[46:47]
	s_delay_alu instid0(VALU_DEP_2) | instskip(SKIP_1) | instid1(VALU_DEP_3)
	v_div_fixup_f64 v[40:41], v[40:41], v[16:17], 1.0
	v_add_nc_u32_e32 v60, v3, v22
	v_div_fixup_f64 v[46:47], v[38:39], v[36:37], 1.0
	ds_load_b128 v[32:35], v60 offset:16
	s_wait_dscnt 0x1
	v_mul_f64_e64 v[48:49], v[6:7], -v[28:29]
	v_mul_f64_e32 v[6:7], v[6:7], v[30:31]
	s_wait_dscnt 0x0
	v_mul_f64_e64 v[42:43], v[14:15], -v[32:33]
	v_mul_f64_e32 v[44:45], v[14:15], v[34:35]
	s_delay_alu instid0(VALU_DEP_4) | instskip(NEXT) | instid1(VALU_DEP_4)
	v_fmac_f64_e32 v[48:49], v[30:31], v[4:5]
	v_fmac_f64_e32 v[6:7], v[28:29], v[4:5]
	s_delay_alu instid0(VALU_DEP_4) | instskip(NEXT) | instid1(VALU_DEP_4)
	v_fmac_f64_e32 v[42:43], v[34:35], v[12:13]
	v_fmac_f64_e32 v[44:45], v[32:33], v[12:13]
	s_delay_alu instid0(VALU_DEP_4)
	v_dual_mul_f64 v[48:49], v[40:41], v[48:49] :: v_dual_add_nc_u32 v61, v2, v22
	ds_load_b128 v[2:5], v60
	ds_load_b128 v[14:17], v61
	v_mul_f64_e32 v[6:7], v[40:41], v[6:7]
	v_mul_f64_e32 v[12:13], v[46:47], v[42:43]
	;; [unrolled: 1-line block ×3, first 2 shown]
	s_wait_dscnt 0x1
	v_mul_f64_e64 v[40:41], v[48:49], -v[4:5]
	v_mul_f64_e32 v[42:43], v[48:49], v[2:3]
	s_wait_dscnt 0x0
	v_mul_f64_e64 v[50:51], v[48:49], -v[16:17]
	v_mul_f64_e32 v[52:53], v[48:49], v[14:15]
	ds_load_b128 v[28:31], v61 offset:16
	ds_load_b128 v[32:35], v21 offset:8224
	;; [unrolled: 1-line block ×3, first 2 shown]
	v_mul_f64_e64 v[46:47], v[12:13], -v[26:27]
	v_mul_f64_e32 v[54:55], v[12:13], v[24:25]
	s_wait_dscnt 0x1
	v_mul_f64_e64 v[56:57], v[12:13], -v[34:35]
	v_mul_f64_e32 v[58:59], v[12:13], v[32:33]
	v_fmac_f64_e32 v[40:41], v[2:3], v[6:7]
	v_fmac_f64_e32 v[42:43], v[4:5], v[6:7]
	;; [unrolled: 1-line block ×4, first 2 shown]
	ds_load_b128 v[2:5], v23
	v_fmac_f64_e32 v[46:47], v[24:25], v[44:45]
	v_fmac_f64_e32 v[54:55], v[26:27], v[44:45]
	s_wait_dscnt 0x0
	v_mul_f64_e32 v[14:15], v[48:49], v[4:5]
	v_mul_f64_e64 v[16:17], v[48:49], -v[2:3]
	v_fmac_f64_e32 v[56:57], v[32:33], v[44:45]
	v_fmac_f64_e32 v[58:59], v[34:35], v[44:45]
	v_mul_f64_e32 v[48:49], v[12:13], v[38:39]
	v_add_f64_e64 v[8:9], v[8:9], -v[40:41]
	v_add_f64_e64 v[24:25], v[10:11], -v[42:43]
	;; [unrolled: 1-line block ×4, first 2 shown]
	v_mul_f64_e64 v[30:31], v[12:13], -v[36:37]
	v_fma_f64 v[2:3], -v[2:3], v[6:7], v[14:15]
	v_fma_f64 v[4:5], -v[4:5], v[6:7], v[16:17]
	;; [unrolled: 1-line block ×3, first 2 shown]
	v_add_f64_e64 v[10:11], v[8:9], -v[46:47]
	v_add_f64_e64 v[12:13], v[24:25], -v[54:55]
	;; [unrolled: 1-line block ×4, first 2 shown]
	v_fma_f64 v[8:9], -v[38:39], v[44:45], v[30:31]
	ds_store_b128 v19, v[10:13] offset:16
	ds_store_b128 v23, v[2:5] offset:16
	;; [unrolled: 1-line block ×4, first 2 shown]
.LBB69_2:
	s_or_b32 exec_lo, exec_lo, s2
	v_lshlrev_b32_e32 v23, 5, v0
	s_wait_dscnt 0x0
	s_barrier_signal -1
	s_barrier_wait -1
	s_and_saveexec_b32 s1, s0
	s_cbranch_execz .LBB69_4
; %bb.3:
	ds_load_b128 v[2:5], v23 offset:16
	ds_load_b128 v[6:9], v23 offset:2064
	;; [unrolled: 1-line block ×4, first 2 shown]
	s_wait_dscnt 0x3
	ds_store_b128 v22, v[2:5] offset:10240
	s_wait_dscnt 0x3
	ds_store_b128 v22, v[6:9] offset:11264
	s_wait_dscnt 0x3
	ds_store_b128 v22, v[10:13] offset:12288
	s_wait_dscnt 0x3
	ds_store_b128 v22, v[14:17] offset:14336
.LBB69_4:
	s_or_b32 exec_lo, exec_lo, s1
	v_or_b32_e32 v24, 0x2800, v22
	v_or_b32_e32 v21, 0x3000, v22
	;; [unrolled: 1-line block ×4, first 2 shown]
	s_wait_dscnt 0x0
	s_barrier_signal -1
	s_barrier_wait -1
                                        ; implicit-def: $vgpr14_vgpr15
                                        ; implicit-def: $vgpr6_vgpr7
                                        ; implicit-def: $vgpr10_vgpr11
                                        ; implicit-def: $vgpr2_vgpr3
	s_and_saveexec_b32 s2, s0
	s_cbranch_execz .LBB69_6
; %bb.5:
	v_sub_nc_u32_e64 v2, v0, 1 clamp
	v_min_u32_e32 v10, 62, v0
	s_delay_alu instid0(VALU_DEP_2) | instskip(NEXT) | instid1(VALU_DEP_2)
	v_lshlrev_b32_e32 v52, 4, v2
	v_lshlrev_b32_e32 v53, 4, v10
	ds_load_b128 v[2:5], v52 offset:11264
	ds_load_b128 v[6:9], v52 offset:10240
	;; [unrolled: 1-line block ×4, first 2 shown]
	s_wait_dscnt 0x3
	v_mul_f64_e32 v[34:35], v[4:5], v[4:5]
	s_wait_dscnt 0x1
	v_mul_f64_e32 v[36:37], v[12:13], v[12:13]
	s_delay_alu instid0(VALU_DEP_2) | instskip(NEXT) | instid1(VALU_DEP_2)
	v_fmac_f64_e32 v[34:35], v[2:3], v[2:3]
	v_fmac_f64_e32 v[36:37], v[10:11], v[10:11]
	s_delay_alu instid0(VALU_DEP_2) | instskip(NEXT) | instid1(VALU_DEP_2)
	v_div_scale_f64 v[26:27], null, v[34:35], v[34:35], 1.0
	v_div_scale_f64 v[38:39], null, v[36:37], v[36:37], 1.0
	v_div_scale_f64 v[32:33], vcc_lo, 1.0, v[34:35], 1.0
	v_div_scale_f64 v[44:45], s1, 1.0, v[36:37], 1.0
	s_delay_alu instid0(VALU_DEP_4) | instskip(NEXT) | instid1(VALU_DEP_3)
	v_rcp_f64_e32 v[40:41], v[26:27]
	v_rcp_f64_e32 v[42:43], v[38:39]
	s_delay_alu instid0(TRANS32_DEP_2) | instskip(NEXT) | instid1(TRANS32_DEP_1)
	v_fma_f64 v[28:29], -v[26:27], v[40:41], 1.0
	v_fma_f64 v[30:31], -v[38:39], v[42:43], 1.0
	s_delay_alu instid0(VALU_DEP_2) | instskip(NEXT) | instid1(VALU_DEP_2)
	v_fmac_f64_e32 v[40:41], v[40:41], v[28:29]
	v_fmac_f64_e32 v[42:43], v[42:43], v[30:31]
	s_delay_alu instid0(VALU_DEP_2) | instskip(NEXT) | instid1(VALU_DEP_2)
	v_fma_f64 v[28:29], -v[26:27], v[40:41], 1.0
	v_fma_f64 v[30:31], -v[38:39], v[42:43], 1.0
	s_delay_alu instid0(VALU_DEP_2) | instskip(NEXT) | instid1(VALU_DEP_2)
	v_fmac_f64_e32 v[40:41], v[40:41], v[28:29]
	v_fmac_f64_e32 v[42:43], v[42:43], v[30:31]
	s_delay_alu instid0(VALU_DEP_2) | instskip(NEXT) | instid1(VALU_DEP_2)
	v_mul_f64_e32 v[46:47], v[32:33], v[40:41]
	v_mul_f64_e32 v[48:49], v[44:45], v[42:43]
	s_delay_alu instid0(VALU_DEP_2)
	v_fma_f64 v[50:51], -v[26:27], v[46:47], v[32:33]
	ds_load_b128 v[26:29], v24
	ds_load_b128 v[30:33], v21
	v_fma_f64 v[38:39], -v[38:39], v[48:49], v[44:45]
	s_wait_dscnt 0x1
	v_mul_f64_e64 v[44:45], v[4:5], -v[26:27]
	v_div_fmas_f64 v[40:41], v[50:51], v[40:41], v[46:47]
	s_mov_b32 vcc_lo, s1
	s_wait_dscnt 0x0
	v_mul_f64_e64 v[46:47], v[12:13], -v[30:31]
	s_delay_alu instid0(VALU_DEP_4)
	v_div_fmas_f64 v[38:39], v[38:39], v[42:43], v[48:49]
	v_mul_f64_e32 v[42:43], v[4:5], v[28:29]
	v_fmac_f64_e32 v[44:45], v[28:29], v[2:3]
	v_div_fixup_f64 v[34:35], v[40:41], v[34:35], 1.0
	v_mul_f64_e32 v[40:41], v[12:13], v[32:33]
	v_fmac_f64_e32 v[46:47], v[32:33], v[10:11]
	v_div_fixup_f64 v[36:37], v[38:39], v[36:37], 1.0
	v_fmac_f64_e32 v[42:43], v[26:27], v[2:3]
	ds_load_b128 v[2:5], v52 offset:12288
	ds_load_b128 v[26:29], v52 offset:14336
	v_mul_f64_e32 v[38:39], v[34:35], v[44:45]
	v_fmac_f64_e32 v[40:41], v[30:31], v[10:11]
	ds_load_b128 v[10:13], v53 offset:14352
	ds_load_b128 v[30:33], v53 offset:12304
	v_mul_f64_e32 v[44:45], v[36:37], v[46:47]
	v_mul_f64_e32 v[34:35], v[34:35], v[42:43]
	s_wait_dscnt 0x3
	v_mul_f64_e64 v[42:43], v[38:39], -v[4:5]
	v_mul_f64_e32 v[46:47], v[38:39], v[2:3]
	s_wait_dscnt 0x2
	v_mul_f64_e64 v[48:49], v[38:39], -v[28:29]
	v_mul_f64_e32 v[50:51], v[38:39], v[26:27]
	v_mul_f64_e32 v[36:37], v[36:37], v[40:41]
	v_mul_f64_e64 v[40:41], v[44:45], -v[16:17]
	v_mul_f64_e32 v[52:53], v[44:45], v[14:15]
	s_wait_dscnt 0x1
	v_mul_f64_e64 v[54:55], v[44:45], -v[12:13]
	v_mul_f64_e32 v[56:57], v[44:45], v[10:11]
	v_mul_f64_e32 v[58:59], v[38:39], v[8:9]
	v_mul_f64_e64 v[38:39], v[38:39], -v[6:7]
	s_wait_dscnt 0x0
	v_mul_f64_e32 v[60:61], v[44:45], v[32:33]
	v_fmac_f64_e32 v[42:43], v[2:3], v[34:35]
	v_fmac_f64_e32 v[46:47], v[4:5], v[34:35]
	;; [unrolled: 1-line block ×4, first 2 shown]
	ds_load_b128 v[2:5], v25
	ds_load_b128 v[26:29], v19
	v_fmac_f64_e32 v[40:41], v[14:15], v[36:37]
	v_fmac_f64_e32 v[52:53], v[16:17], v[36:37]
	;; [unrolled: 1-line block ×4, first 2 shown]
	s_wait_dscnt 0x1
	v_add_f64_e64 v[10:11], v[2:3], -v[42:43]
	v_add_f64_e64 v[12:13], v[4:5], -v[46:47]
	s_wait_dscnt 0x0
	v_add_f64_e64 v[14:15], v[26:27], -v[48:49]
	v_add_f64_e64 v[16:17], v[28:29], -v[50:51]
	v_mul_f64_e64 v[26:27], v[44:45], -v[30:31]
	v_fma_f64 v[2:3], -v[6:7], v[34:35], v[58:59]
	v_fma_f64 v[4:5], -v[8:9], v[34:35], v[38:39]
	;; [unrolled: 1-line block ×3, first 2 shown]
	v_add_f64_e64 v[10:11], v[10:11], -v[40:41]
	v_add_f64_e64 v[12:13], v[12:13], -v[52:53]
	;; [unrolled: 1-line block ×4, first 2 shown]
	v_fma_f64 v[8:9], -v[32:33], v[36:37], v[26:27]
.LBB69_6:
	s_or_b32 exec_lo, exec_lo, s2
	s_barrier_signal -1
	s_barrier_wait -1
	s_and_saveexec_b32 s1, s0
	s_cbranch_execz .LBB69_8
; %bb.7:
	ds_store_b128 v25, v[10:13]
	ds_store_b128 v19, v[14:17]
	;; [unrolled: 1-line block ×4, first 2 shown]
.LBB69_8:
	s_or_b32 exec_lo, exec_lo, s1
	s_wait_dscnt 0x0
	s_barrier_signal -1
	s_barrier_wait -1
	s_and_saveexec_b32 s2, s0
	s_cbranch_execz .LBB69_10
; %bb.9:
	v_sub_nc_u32_e64 v2, v0, 2 clamp
	v_min_u32_e32 v10, 61, v0
	s_delay_alu instid0(VALU_DEP_2) | instskip(NEXT) | instid1(VALU_DEP_2)
	v_lshlrev_b32_e32 v52, 4, v2
	v_lshlrev_b32_e32 v53, 4, v10
	ds_load_b128 v[2:5], v52 offset:11264
	ds_load_b128 v[6:9], v52 offset:10240
	;; [unrolled: 1-line block ×4, first 2 shown]
	s_wait_dscnt 0x3
	v_mul_f64_e32 v[34:35], v[4:5], v[4:5]
	s_wait_dscnt 0x1
	v_mul_f64_e32 v[36:37], v[12:13], v[12:13]
	s_delay_alu instid0(VALU_DEP_2) | instskip(NEXT) | instid1(VALU_DEP_2)
	v_fmac_f64_e32 v[34:35], v[2:3], v[2:3]
	v_fmac_f64_e32 v[36:37], v[10:11], v[10:11]
	s_delay_alu instid0(VALU_DEP_2) | instskip(NEXT) | instid1(VALU_DEP_2)
	v_div_scale_f64 v[26:27], null, v[34:35], v[34:35], 1.0
	v_div_scale_f64 v[38:39], null, v[36:37], v[36:37], 1.0
	v_div_scale_f64 v[32:33], vcc_lo, 1.0, v[34:35], 1.0
	v_div_scale_f64 v[44:45], s1, 1.0, v[36:37], 1.0
	s_delay_alu instid0(VALU_DEP_4) | instskip(NEXT) | instid1(VALU_DEP_3)
	v_rcp_f64_e32 v[40:41], v[26:27]
	v_rcp_f64_e32 v[42:43], v[38:39]
	s_delay_alu instid0(TRANS32_DEP_2) | instskip(NEXT) | instid1(TRANS32_DEP_1)
	v_fma_f64 v[28:29], -v[26:27], v[40:41], 1.0
	v_fma_f64 v[30:31], -v[38:39], v[42:43], 1.0
	s_delay_alu instid0(VALU_DEP_2) | instskip(NEXT) | instid1(VALU_DEP_2)
	v_fmac_f64_e32 v[40:41], v[40:41], v[28:29]
	v_fmac_f64_e32 v[42:43], v[42:43], v[30:31]
	s_delay_alu instid0(VALU_DEP_2) | instskip(NEXT) | instid1(VALU_DEP_2)
	v_fma_f64 v[28:29], -v[26:27], v[40:41], 1.0
	v_fma_f64 v[30:31], -v[38:39], v[42:43], 1.0
	s_delay_alu instid0(VALU_DEP_2) | instskip(NEXT) | instid1(VALU_DEP_2)
	v_fmac_f64_e32 v[40:41], v[40:41], v[28:29]
	v_fmac_f64_e32 v[42:43], v[42:43], v[30:31]
	s_delay_alu instid0(VALU_DEP_2) | instskip(NEXT) | instid1(VALU_DEP_2)
	v_mul_f64_e32 v[46:47], v[32:33], v[40:41]
	v_mul_f64_e32 v[48:49], v[44:45], v[42:43]
	s_delay_alu instid0(VALU_DEP_2)
	v_fma_f64 v[50:51], -v[26:27], v[46:47], v[32:33]
	ds_load_b128 v[26:29], v24
	ds_load_b128 v[30:33], v21
	v_fma_f64 v[38:39], -v[38:39], v[48:49], v[44:45]
	s_wait_dscnt 0x1
	v_mul_f64_e64 v[44:45], v[4:5], -v[26:27]
	v_div_fmas_f64 v[40:41], v[50:51], v[40:41], v[46:47]
	s_mov_b32 vcc_lo, s1
	s_wait_dscnt 0x0
	v_mul_f64_e64 v[46:47], v[12:13], -v[30:31]
	s_delay_alu instid0(VALU_DEP_4)
	v_div_fmas_f64 v[38:39], v[38:39], v[42:43], v[48:49]
	v_mul_f64_e32 v[42:43], v[4:5], v[28:29]
	v_fmac_f64_e32 v[44:45], v[28:29], v[2:3]
	v_div_fixup_f64 v[34:35], v[40:41], v[34:35], 1.0
	v_mul_f64_e32 v[40:41], v[12:13], v[32:33]
	v_fmac_f64_e32 v[46:47], v[32:33], v[10:11]
	v_div_fixup_f64 v[36:37], v[38:39], v[36:37], 1.0
	v_fmac_f64_e32 v[42:43], v[26:27], v[2:3]
	ds_load_b128 v[2:5], v52 offset:12288
	ds_load_b128 v[26:29], v52 offset:14336
	v_mul_f64_e32 v[38:39], v[34:35], v[44:45]
	v_fmac_f64_e32 v[40:41], v[30:31], v[10:11]
	ds_load_b128 v[10:13], v53 offset:14368
	ds_load_b128 v[30:33], v53 offset:12320
	v_mul_f64_e32 v[44:45], v[36:37], v[46:47]
	v_mul_f64_e32 v[34:35], v[34:35], v[42:43]
	s_wait_dscnt 0x3
	v_mul_f64_e64 v[42:43], v[38:39], -v[4:5]
	v_mul_f64_e32 v[46:47], v[38:39], v[2:3]
	s_wait_dscnt 0x2
	v_mul_f64_e64 v[48:49], v[38:39], -v[28:29]
	v_mul_f64_e32 v[50:51], v[38:39], v[26:27]
	v_mul_f64_e32 v[36:37], v[36:37], v[40:41]
	v_mul_f64_e64 v[40:41], v[44:45], -v[16:17]
	v_mul_f64_e32 v[52:53], v[44:45], v[14:15]
	s_wait_dscnt 0x1
	v_mul_f64_e64 v[54:55], v[44:45], -v[12:13]
	v_mul_f64_e32 v[56:57], v[44:45], v[10:11]
	v_mul_f64_e32 v[58:59], v[38:39], v[8:9]
	v_mul_f64_e64 v[38:39], v[38:39], -v[6:7]
	s_wait_dscnt 0x0
	v_mul_f64_e32 v[60:61], v[44:45], v[32:33]
	v_fmac_f64_e32 v[42:43], v[2:3], v[34:35]
	v_fmac_f64_e32 v[46:47], v[4:5], v[34:35]
	;; [unrolled: 1-line block ×4, first 2 shown]
	ds_load_b128 v[2:5], v25
	ds_load_b128 v[26:29], v19
	v_fmac_f64_e32 v[40:41], v[14:15], v[36:37]
	v_fmac_f64_e32 v[52:53], v[16:17], v[36:37]
	;; [unrolled: 1-line block ×4, first 2 shown]
	s_wait_dscnt 0x1
	v_add_f64_e64 v[10:11], v[2:3], -v[42:43]
	v_add_f64_e64 v[12:13], v[4:5], -v[46:47]
	s_wait_dscnt 0x0
	v_add_f64_e64 v[14:15], v[26:27], -v[48:49]
	v_add_f64_e64 v[16:17], v[28:29], -v[50:51]
	v_mul_f64_e64 v[26:27], v[44:45], -v[30:31]
	v_fma_f64 v[2:3], -v[6:7], v[34:35], v[58:59]
	v_fma_f64 v[4:5], -v[8:9], v[34:35], v[38:39]
	;; [unrolled: 1-line block ×3, first 2 shown]
	v_add_f64_e64 v[10:11], v[10:11], -v[40:41]
	v_add_f64_e64 v[12:13], v[12:13], -v[52:53]
	v_add_f64_e64 v[14:15], v[14:15], -v[54:55]
	v_add_f64_e64 v[16:17], v[16:17], -v[56:57]
	v_fma_f64 v[8:9], -v[32:33], v[36:37], v[26:27]
.LBB69_10:
	s_or_b32 exec_lo, exec_lo, s2
	s_barrier_signal -1
	s_barrier_wait -1
	s_and_saveexec_b32 s1, s0
	s_cbranch_execz .LBB69_12
; %bb.11:
	ds_store_b128 v25, v[10:13]
	ds_store_b128 v19, v[14:17]
	;; [unrolled: 1-line block ×4, first 2 shown]
.LBB69_12:
	s_or_b32 exec_lo, exec_lo, s1
	s_wait_dscnt 0x0
	s_barrier_signal -1
	s_barrier_wait -1
	s_and_saveexec_b32 s2, s0
	s_cbranch_execz .LBB69_14
; %bb.13:
	v_sub_nc_u32_e64 v2, v0, 4 clamp
	v_min_u32_e32 v10, 59, v0
	s_delay_alu instid0(VALU_DEP_2) | instskip(NEXT) | instid1(VALU_DEP_2)
	v_lshlrev_b32_e32 v52, 4, v2
	v_lshlrev_b32_e32 v53, 4, v10
	ds_load_b128 v[2:5], v52 offset:11264
	ds_load_b128 v[6:9], v52 offset:10240
	;; [unrolled: 1-line block ×4, first 2 shown]
	s_wait_dscnt 0x3
	v_mul_f64_e32 v[34:35], v[4:5], v[4:5]
	s_wait_dscnt 0x1
	v_mul_f64_e32 v[36:37], v[12:13], v[12:13]
	s_delay_alu instid0(VALU_DEP_2) | instskip(NEXT) | instid1(VALU_DEP_2)
	v_fmac_f64_e32 v[34:35], v[2:3], v[2:3]
	v_fmac_f64_e32 v[36:37], v[10:11], v[10:11]
	s_delay_alu instid0(VALU_DEP_2) | instskip(NEXT) | instid1(VALU_DEP_2)
	v_div_scale_f64 v[26:27], null, v[34:35], v[34:35], 1.0
	v_div_scale_f64 v[38:39], null, v[36:37], v[36:37], 1.0
	v_div_scale_f64 v[32:33], vcc_lo, 1.0, v[34:35], 1.0
	v_div_scale_f64 v[44:45], s1, 1.0, v[36:37], 1.0
	s_delay_alu instid0(VALU_DEP_4) | instskip(NEXT) | instid1(VALU_DEP_3)
	v_rcp_f64_e32 v[40:41], v[26:27]
	v_rcp_f64_e32 v[42:43], v[38:39]
	s_delay_alu instid0(TRANS32_DEP_2) | instskip(NEXT) | instid1(TRANS32_DEP_1)
	v_fma_f64 v[28:29], -v[26:27], v[40:41], 1.0
	v_fma_f64 v[30:31], -v[38:39], v[42:43], 1.0
	s_delay_alu instid0(VALU_DEP_2) | instskip(NEXT) | instid1(VALU_DEP_2)
	v_fmac_f64_e32 v[40:41], v[40:41], v[28:29]
	v_fmac_f64_e32 v[42:43], v[42:43], v[30:31]
	s_delay_alu instid0(VALU_DEP_2) | instskip(NEXT) | instid1(VALU_DEP_2)
	v_fma_f64 v[28:29], -v[26:27], v[40:41], 1.0
	v_fma_f64 v[30:31], -v[38:39], v[42:43], 1.0
	s_delay_alu instid0(VALU_DEP_2) | instskip(NEXT) | instid1(VALU_DEP_2)
	v_fmac_f64_e32 v[40:41], v[40:41], v[28:29]
	v_fmac_f64_e32 v[42:43], v[42:43], v[30:31]
	s_delay_alu instid0(VALU_DEP_2) | instskip(NEXT) | instid1(VALU_DEP_2)
	v_mul_f64_e32 v[46:47], v[32:33], v[40:41]
	v_mul_f64_e32 v[48:49], v[44:45], v[42:43]
	s_delay_alu instid0(VALU_DEP_2)
	v_fma_f64 v[50:51], -v[26:27], v[46:47], v[32:33]
	ds_load_b128 v[26:29], v24
	ds_load_b128 v[30:33], v21
	v_fma_f64 v[38:39], -v[38:39], v[48:49], v[44:45]
	s_wait_dscnt 0x1
	v_mul_f64_e64 v[44:45], v[4:5], -v[26:27]
	v_div_fmas_f64 v[40:41], v[50:51], v[40:41], v[46:47]
	s_mov_b32 vcc_lo, s1
	s_wait_dscnt 0x0
	v_mul_f64_e64 v[46:47], v[12:13], -v[30:31]
	s_delay_alu instid0(VALU_DEP_4)
	v_div_fmas_f64 v[38:39], v[38:39], v[42:43], v[48:49]
	v_mul_f64_e32 v[42:43], v[4:5], v[28:29]
	v_fmac_f64_e32 v[44:45], v[28:29], v[2:3]
	v_div_fixup_f64 v[34:35], v[40:41], v[34:35], 1.0
	v_mul_f64_e32 v[40:41], v[12:13], v[32:33]
	v_fmac_f64_e32 v[46:47], v[32:33], v[10:11]
	v_div_fixup_f64 v[36:37], v[38:39], v[36:37], 1.0
	v_fmac_f64_e32 v[42:43], v[26:27], v[2:3]
	ds_load_b128 v[2:5], v52 offset:12288
	ds_load_b128 v[26:29], v52 offset:14336
	v_mul_f64_e32 v[38:39], v[34:35], v[44:45]
	v_fmac_f64_e32 v[40:41], v[30:31], v[10:11]
	ds_load_b128 v[10:13], v53 offset:14400
	ds_load_b128 v[30:33], v53 offset:12352
	v_mul_f64_e32 v[44:45], v[36:37], v[46:47]
	v_mul_f64_e32 v[34:35], v[34:35], v[42:43]
	s_wait_dscnt 0x3
	v_mul_f64_e64 v[42:43], v[38:39], -v[4:5]
	v_mul_f64_e32 v[46:47], v[38:39], v[2:3]
	s_wait_dscnt 0x2
	v_mul_f64_e64 v[48:49], v[38:39], -v[28:29]
	v_mul_f64_e32 v[50:51], v[38:39], v[26:27]
	v_mul_f64_e32 v[36:37], v[36:37], v[40:41]
	v_mul_f64_e64 v[40:41], v[44:45], -v[16:17]
	v_mul_f64_e32 v[52:53], v[44:45], v[14:15]
	s_wait_dscnt 0x1
	v_mul_f64_e64 v[54:55], v[44:45], -v[12:13]
	v_mul_f64_e32 v[56:57], v[44:45], v[10:11]
	v_mul_f64_e32 v[58:59], v[38:39], v[8:9]
	v_mul_f64_e64 v[38:39], v[38:39], -v[6:7]
	s_wait_dscnt 0x0
	v_mul_f64_e32 v[60:61], v[44:45], v[32:33]
	v_fmac_f64_e32 v[42:43], v[2:3], v[34:35]
	v_fmac_f64_e32 v[46:47], v[4:5], v[34:35]
	;; [unrolled: 1-line block ×4, first 2 shown]
	ds_load_b128 v[2:5], v25
	ds_load_b128 v[26:29], v19
	v_fmac_f64_e32 v[40:41], v[14:15], v[36:37]
	v_fmac_f64_e32 v[52:53], v[16:17], v[36:37]
	v_fmac_f64_e32 v[54:55], v[10:11], v[36:37]
	v_fmac_f64_e32 v[56:57], v[12:13], v[36:37]
	s_wait_dscnt 0x1
	v_add_f64_e64 v[10:11], v[2:3], -v[42:43]
	v_add_f64_e64 v[12:13], v[4:5], -v[46:47]
	s_wait_dscnt 0x0
	v_add_f64_e64 v[14:15], v[26:27], -v[48:49]
	v_add_f64_e64 v[16:17], v[28:29], -v[50:51]
	v_mul_f64_e64 v[26:27], v[44:45], -v[30:31]
	v_fma_f64 v[2:3], -v[6:7], v[34:35], v[58:59]
	v_fma_f64 v[4:5], -v[8:9], v[34:35], v[38:39]
	;; [unrolled: 1-line block ×3, first 2 shown]
	v_add_f64_e64 v[10:11], v[10:11], -v[40:41]
	v_add_f64_e64 v[12:13], v[12:13], -v[52:53]
	;; [unrolled: 1-line block ×4, first 2 shown]
	v_fma_f64 v[8:9], -v[32:33], v[36:37], v[26:27]
.LBB69_14:
	s_or_b32 exec_lo, exec_lo, s2
	s_barrier_signal -1
	s_barrier_wait -1
	s_and_saveexec_b32 s1, s0
	s_cbranch_execz .LBB69_16
; %bb.15:
	ds_store_b128 v25, v[10:13]
	ds_store_b128 v19, v[14:17]
	;; [unrolled: 1-line block ×4, first 2 shown]
.LBB69_16:
	s_or_b32 exec_lo, exec_lo, s1
	s_wait_dscnt 0x0
	s_barrier_signal -1
	s_barrier_wait -1
	s_and_saveexec_b32 s2, s0
	s_cbranch_execz .LBB69_18
; %bb.17:
	v_sub_nc_u32_e64 v2, v0, 8 clamp
	v_min_u32_e32 v10, 55, v0
	s_delay_alu instid0(VALU_DEP_2) | instskip(NEXT) | instid1(VALU_DEP_2)
	v_lshlrev_b32_e32 v52, 4, v2
	v_lshlrev_b32_e32 v53, 4, v10
	ds_load_b128 v[2:5], v52 offset:11264
	ds_load_b128 v[6:9], v52 offset:10240
	;; [unrolled: 1-line block ×4, first 2 shown]
	s_wait_dscnt 0x3
	v_mul_f64_e32 v[34:35], v[4:5], v[4:5]
	s_wait_dscnt 0x1
	v_mul_f64_e32 v[36:37], v[12:13], v[12:13]
	s_delay_alu instid0(VALU_DEP_2) | instskip(NEXT) | instid1(VALU_DEP_2)
	v_fmac_f64_e32 v[34:35], v[2:3], v[2:3]
	v_fmac_f64_e32 v[36:37], v[10:11], v[10:11]
	s_delay_alu instid0(VALU_DEP_2) | instskip(NEXT) | instid1(VALU_DEP_2)
	v_div_scale_f64 v[26:27], null, v[34:35], v[34:35], 1.0
	v_div_scale_f64 v[38:39], null, v[36:37], v[36:37], 1.0
	v_div_scale_f64 v[32:33], vcc_lo, 1.0, v[34:35], 1.0
	v_div_scale_f64 v[44:45], s1, 1.0, v[36:37], 1.0
	s_delay_alu instid0(VALU_DEP_4) | instskip(NEXT) | instid1(VALU_DEP_3)
	v_rcp_f64_e32 v[40:41], v[26:27]
	v_rcp_f64_e32 v[42:43], v[38:39]
	s_delay_alu instid0(TRANS32_DEP_2) | instskip(NEXT) | instid1(TRANS32_DEP_1)
	v_fma_f64 v[28:29], -v[26:27], v[40:41], 1.0
	v_fma_f64 v[30:31], -v[38:39], v[42:43], 1.0
	s_delay_alu instid0(VALU_DEP_2) | instskip(NEXT) | instid1(VALU_DEP_2)
	v_fmac_f64_e32 v[40:41], v[40:41], v[28:29]
	v_fmac_f64_e32 v[42:43], v[42:43], v[30:31]
	s_delay_alu instid0(VALU_DEP_2) | instskip(NEXT) | instid1(VALU_DEP_2)
	v_fma_f64 v[28:29], -v[26:27], v[40:41], 1.0
	v_fma_f64 v[30:31], -v[38:39], v[42:43], 1.0
	s_delay_alu instid0(VALU_DEP_2) | instskip(NEXT) | instid1(VALU_DEP_2)
	v_fmac_f64_e32 v[40:41], v[40:41], v[28:29]
	v_fmac_f64_e32 v[42:43], v[42:43], v[30:31]
	s_delay_alu instid0(VALU_DEP_2) | instskip(NEXT) | instid1(VALU_DEP_2)
	v_mul_f64_e32 v[46:47], v[32:33], v[40:41]
	v_mul_f64_e32 v[48:49], v[44:45], v[42:43]
	s_delay_alu instid0(VALU_DEP_2)
	v_fma_f64 v[50:51], -v[26:27], v[46:47], v[32:33]
	ds_load_b128 v[26:29], v24
	ds_load_b128 v[30:33], v21
	v_fma_f64 v[38:39], -v[38:39], v[48:49], v[44:45]
	s_wait_dscnt 0x1
	v_mul_f64_e64 v[44:45], v[4:5], -v[26:27]
	v_div_fmas_f64 v[40:41], v[50:51], v[40:41], v[46:47]
	s_mov_b32 vcc_lo, s1
	s_wait_dscnt 0x0
	v_mul_f64_e64 v[46:47], v[12:13], -v[30:31]
	s_delay_alu instid0(VALU_DEP_4)
	v_div_fmas_f64 v[38:39], v[38:39], v[42:43], v[48:49]
	v_mul_f64_e32 v[42:43], v[4:5], v[28:29]
	v_fmac_f64_e32 v[44:45], v[28:29], v[2:3]
	v_div_fixup_f64 v[34:35], v[40:41], v[34:35], 1.0
	v_mul_f64_e32 v[40:41], v[12:13], v[32:33]
	v_fmac_f64_e32 v[46:47], v[32:33], v[10:11]
	v_div_fixup_f64 v[36:37], v[38:39], v[36:37], 1.0
	v_fmac_f64_e32 v[42:43], v[26:27], v[2:3]
	ds_load_b128 v[2:5], v52 offset:12288
	ds_load_b128 v[26:29], v52 offset:14336
	v_mul_f64_e32 v[38:39], v[34:35], v[44:45]
	v_fmac_f64_e32 v[40:41], v[30:31], v[10:11]
	ds_load_b128 v[10:13], v53 offset:14464
	ds_load_b128 v[30:33], v53 offset:12416
	v_mul_f64_e32 v[44:45], v[36:37], v[46:47]
	v_mul_f64_e32 v[34:35], v[34:35], v[42:43]
	s_wait_dscnt 0x3
	v_mul_f64_e64 v[42:43], v[38:39], -v[4:5]
	v_mul_f64_e32 v[46:47], v[38:39], v[2:3]
	s_wait_dscnt 0x2
	v_mul_f64_e64 v[48:49], v[38:39], -v[28:29]
	v_mul_f64_e32 v[50:51], v[38:39], v[26:27]
	v_mul_f64_e32 v[36:37], v[36:37], v[40:41]
	v_mul_f64_e64 v[40:41], v[44:45], -v[16:17]
	v_mul_f64_e32 v[52:53], v[44:45], v[14:15]
	s_wait_dscnt 0x1
	v_mul_f64_e64 v[54:55], v[44:45], -v[12:13]
	v_mul_f64_e32 v[56:57], v[44:45], v[10:11]
	v_mul_f64_e32 v[58:59], v[38:39], v[8:9]
	v_mul_f64_e64 v[38:39], v[38:39], -v[6:7]
	s_wait_dscnt 0x0
	v_mul_f64_e32 v[60:61], v[44:45], v[32:33]
	v_fmac_f64_e32 v[42:43], v[2:3], v[34:35]
	v_fmac_f64_e32 v[46:47], v[4:5], v[34:35]
	;; [unrolled: 1-line block ×4, first 2 shown]
	ds_load_b128 v[2:5], v25
	ds_load_b128 v[26:29], v19
	v_fmac_f64_e32 v[40:41], v[14:15], v[36:37]
	v_fmac_f64_e32 v[52:53], v[16:17], v[36:37]
	;; [unrolled: 1-line block ×4, first 2 shown]
	s_wait_dscnt 0x1
	v_add_f64_e64 v[10:11], v[2:3], -v[42:43]
	v_add_f64_e64 v[12:13], v[4:5], -v[46:47]
	s_wait_dscnt 0x0
	v_add_f64_e64 v[14:15], v[26:27], -v[48:49]
	v_add_f64_e64 v[16:17], v[28:29], -v[50:51]
	v_mul_f64_e64 v[26:27], v[44:45], -v[30:31]
	v_fma_f64 v[2:3], -v[6:7], v[34:35], v[58:59]
	v_fma_f64 v[4:5], -v[8:9], v[34:35], v[38:39]
	v_fma_f64 v[6:7], -v[30:31], v[36:37], v[60:61]
	v_add_f64_e64 v[10:11], v[10:11], -v[40:41]
	v_add_f64_e64 v[12:13], v[12:13], -v[52:53]
	;; [unrolled: 1-line block ×4, first 2 shown]
	v_fma_f64 v[8:9], -v[32:33], v[36:37], v[26:27]
.LBB69_18:
	s_or_b32 exec_lo, exec_lo, s2
	s_barrier_signal -1
	s_barrier_wait -1
	s_and_saveexec_b32 s1, s0
	s_cbranch_execz .LBB69_20
; %bb.19:
	ds_store_b128 v25, v[10:13]
	ds_store_b128 v19, v[14:17]
	;; [unrolled: 1-line block ×4, first 2 shown]
.LBB69_20:
	s_or_b32 exec_lo, exec_lo, s1
	s_wait_dscnt 0x0
	s_barrier_signal -1
	s_barrier_wait -1
	s_and_saveexec_b32 s2, s0
	s_cbranch_execz .LBB69_22
; %bb.21:
	v_sub_nc_u32_e64 v2, v0, 16 clamp
	v_min_u32_e32 v10, 47, v0
	s_delay_alu instid0(VALU_DEP_2) | instskip(NEXT) | instid1(VALU_DEP_2)
	v_lshlrev_b32_e32 v52, 4, v2
	v_lshlrev_b32_e32 v53, 4, v10
	ds_load_b128 v[2:5], v52 offset:11264
	ds_load_b128 v[6:9], v52 offset:10240
	;; [unrolled: 1-line block ×4, first 2 shown]
	s_wait_dscnt 0x3
	v_mul_f64_e32 v[34:35], v[4:5], v[4:5]
	s_wait_dscnt 0x1
	v_mul_f64_e32 v[36:37], v[12:13], v[12:13]
	s_delay_alu instid0(VALU_DEP_2) | instskip(NEXT) | instid1(VALU_DEP_2)
	v_fmac_f64_e32 v[34:35], v[2:3], v[2:3]
	v_fmac_f64_e32 v[36:37], v[10:11], v[10:11]
	s_delay_alu instid0(VALU_DEP_2) | instskip(NEXT) | instid1(VALU_DEP_2)
	v_div_scale_f64 v[26:27], null, v[34:35], v[34:35], 1.0
	v_div_scale_f64 v[38:39], null, v[36:37], v[36:37], 1.0
	v_div_scale_f64 v[32:33], vcc_lo, 1.0, v[34:35], 1.0
	v_div_scale_f64 v[44:45], s1, 1.0, v[36:37], 1.0
	s_delay_alu instid0(VALU_DEP_4) | instskip(NEXT) | instid1(VALU_DEP_3)
	v_rcp_f64_e32 v[40:41], v[26:27]
	v_rcp_f64_e32 v[42:43], v[38:39]
	s_delay_alu instid0(TRANS32_DEP_2) | instskip(NEXT) | instid1(TRANS32_DEP_1)
	v_fma_f64 v[28:29], -v[26:27], v[40:41], 1.0
	v_fma_f64 v[30:31], -v[38:39], v[42:43], 1.0
	s_delay_alu instid0(VALU_DEP_2) | instskip(NEXT) | instid1(VALU_DEP_2)
	v_fmac_f64_e32 v[40:41], v[40:41], v[28:29]
	v_fmac_f64_e32 v[42:43], v[42:43], v[30:31]
	s_delay_alu instid0(VALU_DEP_2) | instskip(NEXT) | instid1(VALU_DEP_2)
	v_fma_f64 v[28:29], -v[26:27], v[40:41], 1.0
	v_fma_f64 v[30:31], -v[38:39], v[42:43], 1.0
	s_delay_alu instid0(VALU_DEP_2) | instskip(NEXT) | instid1(VALU_DEP_2)
	v_fmac_f64_e32 v[40:41], v[40:41], v[28:29]
	v_fmac_f64_e32 v[42:43], v[42:43], v[30:31]
	s_delay_alu instid0(VALU_DEP_2) | instskip(NEXT) | instid1(VALU_DEP_2)
	v_mul_f64_e32 v[46:47], v[32:33], v[40:41]
	v_mul_f64_e32 v[48:49], v[44:45], v[42:43]
	s_delay_alu instid0(VALU_DEP_2)
	v_fma_f64 v[50:51], -v[26:27], v[46:47], v[32:33]
	ds_load_b128 v[26:29], v24
	ds_load_b128 v[30:33], v21
	v_fma_f64 v[38:39], -v[38:39], v[48:49], v[44:45]
	s_wait_dscnt 0x1
	v_mul_f64_e64 v[44:45], v[4:5], -v[26:27]
	v_div_fmas_f64 v[40:41], v[50:51], v[40:41], v[46:47]
	s_mov_b32 vcc_lo, s1
	s_wait_dscnt 0x0
	v_mul_f64_e64 v[46:47], v[12:13], -v[30:31]
	s_delay_alu instid0(VALU_DEP_4)
	v_div_fmas_f64 v[38:39], v[38:39], v[42:43], v[48:49]
	v_mul_f64_e32 v[42:43], v[4:5], v[28:29]
	v_fmac_f64_e32 v[44:45], v[28:29], v[2:3]
	v_div_fixup_f64 v[34:35], v[40:41], v[34:35], 1.0
	v_mul_f64_e32 v[40:41], v[12:13], v[32:33]
	v_fmac_f64_e32 v[46:47], v[32:33], v[10:11]
	v_div_fixup_f64 v[36:37], v[38:39], v[36:37], 1.0
	v_fmac_f64_e32 v[42:43], v[26:27], v[2:3]
	ds_load_b128 v[2:5], v52 offset:12288
	ds_load_b128 v[26:29], v52 offset:14336
	v_mul_f64_e32 v[38:39], v[34:35], v[44:45]
	v_fmac_f64_e32 v[40:41], v[30:31], v[10:11]
	ds_load_b128 v[10:13], v53 offset:14592
	ds_load_b128 v[30:33], v53 offset:12544
	v_mul_f64_e32 v[44:45], v[36:37], v[46:47]
	v_mul_f64_e32 v[34:35], v[34:35], v[42:43]
	s_wait_dscnt 0x3
	v_mul_f64_e64 v[42:43], v[38:39], -v[4:5]
	v_mul_f64_e32 v[46:47], v[38:39], v[2:3]
	s_wait_dscnt 0x2
	v_mul_f64_e64 v[48:49], v[38:39], -v[28:29]
	v_mul_f64_e32 v[50:51], v[38:39], v[26:27]
	v_mul_f64_e32 v[36:37], v[36:37], v[40:41]
	v_mul_f64_e64 v[40:41], v[44:45], -v[16:17]
	v_mul_f64_e32 v[52:53], v[44:45], v[14:15]
	s_wait_dscnt 0x1
	v_mul_f64_e64 v[54:55], v[44:45], -v[12:13]
	v_mul_f64_e32 v[56:57], v[44:45], v[10:11]
	v_mul_f64_e32 v[58:59], v[38:39], v[8:9]
	v_mul_f64_e64 v[38:39], v[38:39], -v[6:7]
	s_wait_dscnt 0x0
	v_mul_f64_e32 v[60:61], v[44:45], v[32:33]
	v_fmac_f64_e32 v[42:43], v[2:3], v[34:35]
	v_fmac_f64_e32 v[46:47], v[4:5], v[34:35]
	;; [unrolled: 1-line block ×4, first 2 shown]
	ds_load_b128 v[2:5], v25
	ds_load_b128 v[26:29], v19
	v_fmac_f64_e32 v[40:41], v[14:15], v[36:37]
	v_fmac_f64_e32 v[52:53], v[16:17], v[36:37]
	;; [unrolled: 1-line block ×4, first 2 shown]
	s_wait_dscnt 0x1
	v_add_f64_e64 v[10:11], v[2:3], -v[42:43]
	v_add_f64_e64 v[12:13], v[4:5], -v[46:47]
	s_wait_dscnt 0x0
	v_add_f64_e64 v[14:15], v[26:27], -v[48:49]
	v_add_f64_e64 v[16:17], v[28:29], -v[50:51]
	v_mul_f64_e64 v[26:27], v[44:45], -v[30:31]
	v_fma_f64 v[2:3], -v[6:7], v[34:35], v[58:59]
	v_fma_f64 v[4:5], -v[8:9], v[34:35], v[38:39]
	;; [unrolled: 1-line block ×3, first 2 shown]
	v_add_f64_e64 v[10:11], v[10:11], -v[40:41]
	v_add_f64_e64 v[12:13], v[12:13], -v[52:53]
	;; [unrolled: 1-line block ×4, first 2 shown]
	v_fma_f64 v[8:9], -v[32:33], v[36:37], v[26:27]
.LBB69_22:
	s_or_b32 exec_lo, exec_lo, s2
	s_barrier_signal -1
	s_barrier_wait -1
	s_and_saveexec_b32 s1, s0
	s_cbranch_execz .LBB69_24
; %bb.23:
	ds_store_b128 v25, v[10:13]
	ds_store_b128 v19, v[14:17]
	;; [unrolled: 1-line block ×4, first 2 shown]
.LBB69_24:
	s_or_b32 exec_lo, exec_lo, s1
	s_delay_alu instid0(SALU_CYCLE_1)
	s_mov_b32 s1, exec_lo
	s_wait_dscnt 0x0
	s_barrier_signal -1
	s_barrier_wait -1
	v_cmpx_gt_u32_e32 32, v0
	s_cbranch_execz .LBB69_26
; %bb.25:
	ds_load_b128 v[2:5], v25
	ds_load_b128 v[6:9], v25 offset:512
	ds_load_b128 v[10:13], v24 offset:512
	ds_load_b128 v[14:17], v21
	s_wait_dscnt 0x2
	v_mul_f64_e32 v[24:25], v[4:5], v[6:7]
	v_mul_f64_e64 v[28:29], v[4:5], -v[8:9]
	s_wait_dscnt 0x0
	v_mul_f64_e32 v[26:27], v[12:13], v[14:15]
	v_mul_f64_e64 v[30:31], v[12:13], -v[16:17]
	s_delay_alu instid0(VALU_DEP_4) | instskip(NEXT) | instid1(VALU_DEP_4)
	v_fmac_f64_e32 v[24:25], v[8:9], v[2:3]
	v_fmac_f64_e32 v[28:29], v[6:7], v[2:3]
	s_delay_alu instid0(VALU_DEP_4) | instskip(NEXT) | instid1(VALU_DEP_4)
	v_fmac_f64_e32 v[26:27], v[16:17], v[10:11]
	v_fmac_f64_e32 v[30:31], v[14:15], v[10:11]
	s_delay_alu instid0(VALU_DEP_2) | instskip(NEXT) | instid1(VALU_DEP_2)
	v_add_f64_e64 v[32:33], v[24:25], -v[26:27]
	v_add_f64_e64 v[34:35], v[28:29], -v[30:31]
	s_delay_alu instid0(VALU_DEP_2) | instskip(NEXT) | instid1(VALU_DEP_1)
	v_mul_f64_e32 v[36:37], v[32:33], v[32:33]
	v_fmac_f64_e32 v[36:37], v[34:35], v[34:35]
	s_delay_alu instid0(VALU_DEP_1) | instskip(SKIP_1) | instid1(VALU_DEP_2)
	v_div_scale_f64 v[24:25], null, v[36:37], v[36:37], 1.0
	v_div_scale_f64 v[28:29], vcc_lo, 1.0, v[36:37], 1.0
	v_rcp_f64_e32 v[38:39], v[24:25]
	v_nop
	s_delay_alu instid0(TRANS32_DEP_1) | instskip(NEXT) | instid1(VALU_DEP_1)
	v_fma_f64 v[26:27], -v[24:25], v[38:39], 1.0
	v_fmac_f64_e32 v[38:39], v[38:39], v[26:27]
	s_delay_alu instid0(VALU_DEP_1) | instskip(NEXT) | instid1(VALU_DEP_1)
	v_fma_f64 v[26:27], -v[24:25], v[38:39], 1.0
	v_fmac_f64_e32 v[38:39], v[38:39], v[26:27]
	s_delay_alu instid0(VALU_DEP_1) | instskip(NEXT) | instid1(VALU_DEP_1)
	v_mul_f64_e32 v[40:41], v[28:29], v[38:39]
	v_fma_f64 v[42:43], -v[24:25], v[40:41], v[28:29]
	ds_load_b128 v[24:27], v19
	ds_load_b128 v[28:31], v19 offset:512
	s_wait_dscnt 0x1
	v_mul_f64_e64 v[44:45], v[26:27], -v[8:9]
	v_mul_f64_e32 v[46:47], v[6:7], v[26:27]
	s_wait_dscnt 0x0
	v_mul_f64_e64 v[48:49], v[30:31], -v[16:17]
	v_mul_f64_e32 v[50:51], v[14:15], v[30:31]
	v_mul_f64_e64 v[52:53], v[4:5], -v[30:31]
	v_mul_f64_e32 v[4:5], v[4:5], v[28:29]
	v_div_fmas_f64 v[38:39], v[42:43], v[38:39], v[40:41]
	v_mul_f64_e32 v[40:41], v[12:13], v[24:25]
	v_mul_f64_e64 v[12:13], v[12:13], -v[26:27]
	v_fmac_f64_e32 v[44:45], v[6:7], v[24:25]
	v_fmac_f64_e32 v[46:47], v[8:9], v[24:25]
	;; [unrolled: 1-line block ×4, first 2 shown]
	v_fma_f64 v[6:7], v[34:35], 0, -v[32:33]
	v_fmac_f64_e32 v[52:53], v[28:29], v[2:3]
	v_fmac_f64_e32 v[4:5], v[30:31], v[2:3]
	v_fma_f64 v[2:3], 0, v[32:33], v[34:35]
	v_div_fixup_f64 v[8:9], v[38:39], v[36:37], 1.0
	v_fmac_f64_e32 v[40:41], v[26:27], v[10:11]
	v_fmac_f64_e32 v[12:13], v[24:25], v[10:11]
	v_add_f64_e64 v[16:17], v[44:45], -v[48:49]
	v_add_f64_e64 v[10:11], v[46:47], -v[50:51]
	v_mul_f64_e32 v[14:15], v[6:7], v[8:9]
	v_add_f64_e64 v[24:25], v[4:5], -v[40:41]
	v_add_f64_e64 v[12:13], v[52:53], -v[12:13]
	v_mul_f64_e32 v[26:27], v[2:3], v[8:9]
	s_delay_alu instid0(VALU_DEP_4) | instskip(SKIP_3) | instid1(VALU_DEP_4)
	v_mul_f64_e64 v[2:3], v[14:15], -v[10:11]
	v_mul_f64_e32 v[4:5], v[14:15], v[16:17]
	v_mul_f64_e64 v[6:7], v[14:15], -v[24:25]
	v_mul_f64_e32 v[8:9], v[14:15], v[12:13]
	v_fmac_f64_e32 v[2:3], v[16:17], v[26:27]
	s_delay_alu instid0(VALU_DEP_4) | instskip(NEXT) | instid1(VALU_DEP_4)
	v_fmac_f64_e32 v[4:5], v[10:11], v[26:27]
	v_fmac_f64_e32 v[6:7], v[12:13], v[26:27]
	s_delay_alu instid0(VALU_DEP_4)
	v_fmac_f64_e32 v[8:9], v[24:25], v[26:27]
	ds_store_b128 v22, v[2:5] offset:13312
	ds_store_b128 v22, v[6:9] offset:13824
.LBB69_26:
	s_or_b32 exec_lo, exec_lo, s1
	v_dual_ashrrev_i32 v19, 31, v18 :: v_dual_mov_b32 v21, 0
	s_wait_dscnt 0x0
	s_barrier_signal -1
	s_barrier_wait -1
	s_and_saveexec_b32 s1, s0
	s_cbranch_execz .LBB69_28
; %bb.27:
	ds_load_b128 v[2:5], v22 offset:13312
	s_wait_dscnt 0x0
	ds_store_b128 v23, v[2:5] offset:6160
.LBB69_28:
	s_or_b32 exec_lo, exec_lo, s1
	s_wait_dscnt 0x0
	s_barrier_signal -1
	s_barrier_wait -1
	s_and_saveexec_b32 s1, s0
	s_cbranch_execz .LBB69_34
; %bb.29:
	v_cmp_ne_u32_e32 vcc_lo, 0, v0
	v_lshl_or_b32 v3, v0, 5, 0x2000
	v_lshlrev_b32_e32 v2, 4, v1
                                        ; implicit-def: $vgpr0_vgpr1
	s_and_saveexec_b32 s0, vcc_lo
	s_delay_alu instid0(SALU_CYCLE_1)
	s_xor_b32 s0, exec_lo, s0
	s_cbranch_execz .LBB69_31
; %bb.30:
	ds_load_b128 v[4:7], v2 offset:2048
	s_wait_dscnt 0x0
	v_mul_f64_e32 v[0:1], v[6:7], v[6:7]
	s_delay_alu instid0(VALU_DEP_1) | instskip(NEXT) | instid1(VALU_DEP_1)
	v_fmac_f64_e32 v[0:1], v[4:5], v[4:5]
	v_div_scale_f64 v[28:29], null, v[0:1], v[0:1], 1.0
	v_div_scale_f64 v[40:41], vcc_lo, 1.0, v[0:1], 1.0
	s_delay_alu instid0(VALU_DEP_2) | instskip(SKIP_1) | instid1(TRANS32_DEP_1)
	v_rcp_f64_e32 v[30:31], v[28:29]
	v_nop
	v_fma_f64 v[8:9], -v[28:29], v[30:31], 1.0
	s_delay_alu instid0(VALU_DEP_1)
	v_fmac_f64_e32 v[30:31], v[30:31], v[8:9]
	ds_load_b128 v[8:11], v2
	ds_load_b128 v[12:15], v2 offset:6128
	ds_load_b128 v[24:27], v2 offset:4096
	s_wait_dscnt 0x1
	v_mul_f64_e32 v[34:35], v[14:15], v[8:9]
	v_mul_f64_e64 v[36:37], v[14:15], -v[10:11]
	ds_load_b128 v[14:17], v2 offset:6160
	v_fma_f64 v[32:33], -v[28:29], v[30:31], 1.0
	v_fmac_f64_e32 v[34:35], v[10:11], v[12:13]
	v_fmac_f64_e32 v[36:37], v[8:9], v[12:13]
	ds_load_b128 v[8:11], v3
	s_wait_dscnt 0x1
	v_mul_f64_e64 v[38:39], v[16:17], -v[26:27]
	v_mul_f64_e32 v[16:17], v[16:17], v[24:25]
                                        ; implicit-def: $vgpr3
	v_fmac_f64_e32 v[30:31], v[30:31], v[32:33]
	s_wait_dscnt 0x0
	v_add_f64_e64 v[10:11], v[10:11], -v[34:35]
	v_add_f64_e64 v[8:9], v[8:9], -v[36:37]
	v_fmac_f64_e32 v[38:39], v[24:25], v[14:15]
	v_fmac_f64_e32 v[16:17], v[26:27], v[14:15]
	v_mul_f64_e32 v[12:13], v[40:41], v[30:31]
	s_delay_alu instid0(VALU_DEP_3) | instskip(NEXT) | instid1(VALU_DEP_3)
	v_add_f64_e64 v[8:9], v[8:9], -v[38:39]
	v_add_f64_e64 v[10:11], v[10:11], -v[16:17]
	s_delay_alu instid0(VALU_DEP_3) | instskip(NEXT) | instid1(VALU_DEP_1)
	v_fma_f64 v[14:15], -v[28:29], v[12:13], v[40:41]
	v_div_fmas_f64 v[12:13], v[14:15], v[30:31], v[12:13]
	s_delay_alu instid0(VALU_DEP_3) | instskip(SKIP_1) | instid1(VALU_DEP_3)
	v_mul_f64_e32 v[14:15], v[6:7], v[10:11]
	v_mul_f64_e64 v[6:7], v[6:7], -v[8:9]
	v_div_fixup_f64 v[0:1], v[12:13], v[0:1], 1.0
	s_delay_alu instid0(VALU_DEP_3) | instskip(NEXT) | instid1(VALU_DEP_3)
	v_fmac_f64_e32 v[14:15], v[8:9], v[4:5]
	v_fmac_f64_e32 v[6:7], v[10:11], v[4:5]
	s_delay_alu instid0(VALU_DEP_2) | instskip(NEXT) | instid1(VALU_DEP_2)
	v_mul_f64_e32 v[4:5], v[14:15], v[0:1]
	v_mul_f64_e32 v[0:1], v[0:1], v[6:7]
	ds_store_b64 v2, v[4:5] offset:6144
.LBB69_31:
	s_and_not1_saveexec_b32 s0, s0
	s_cbranch_execz .LBB69_33
; %bb.32:
	ds_load_b128 v[4:7], v2 offset:2048
	s_wait_dscnt 0x0
	v_mul_f64_e32 v[0:1], v[6:7], v[6:7]
	s_delay_alu instid0(VALU_DEP_1) | instskip(NEXT) | instid1(VALU_DEP_1)
	v_fmac_f64_e32 v[0:1], v[4:5], v[4:5]
	v_div_scale_f64 v[16:17], null, v[0:1], v[0:1], 1.0
	v_div_scale_f64 v[32:33], vcc_lo, 1.0, v[0:1], 1.0
	s_delay_alu instid0(VALU_DEP_2) | instskip(SKIP_1) | instid1(TRANS32_DEP_1)
	v_rcp_f64_e32 v[28:29], v[16:17]
	v_nop
	v_fma_f64 v[8:9], -v[16:17], v[28:29], 1.0
	s_delay_alu instid0(VALU_DEP_1) | instskip(SKIP_4) | instid1(VALU_DEP_1)
	v_fmac_f64_e32 v[28:29], v[28:29], v[8:9]
	ds_load_b128 v[8:11], v2 offset:4096
	ds_load_b128 v[12:15], v2 offset:6160
	ds_load_b128 v[24:27], v3
	v_fma_f64 v[30:31], -v[16:17], v[28:29], 1.0
	v_fmac_f64_e32 v[28:29], v[28:29], v[30:31]
	s_wait_dscnt 0x1
	v_mul_f64_e32 v[30:31], v[14:15], v[8:9]
	v_mul_f64_e64 v[14:15], v[14:15], -v[10:11]
	s_delay_alu instid0(VALU_DEP_3) | instskip(NEXT) | instid1(VALU_DEP_3)
	v_mul_f64_e32 v[34:35], v[32:33], v[28:29]
	v_fmac_f64_e32 v[30:31], v[10:11], v[12:13]
	s_delay_alu instid0(VALU_DEP_3) | instskip(NEXT) | instid1(VALU_DEP_3)
	v_fmac_f64_e32 v[14:15], v[8:9], v[12:13]
	v_fma_f64 v[8:9], -v[16:17], v[34:35], v[32:33]
	s_wait_dscnt 0x0
	s_delay_alu instid0(VALU_DEP_3) | instskip(NEXT) | instid1(VALU_DEP_3)
	v_add_f64_e64 v[10:11], v[26:27], -v[30:31]
	v_add_f64_e64 v[12:13], v[24:25], -v[14:15]
	s_delay_alu instid0(VALU_DEP_3) | instskip(NEXT) | instid1(VALU_DEP_3)
	v_div_fmas_f64 v[8:9], v[8:9], v[28:29], v[34:35]
	v_mul_f64_e32 v[14:15], v[10:11], v[6:7]
	s_delay_alu instid0(VALU_DEP_3) | instskip(NEXT) | instid1(VALU_DEP_3)
	v_mul_f64_e64 v[6:7], v[6:7], -v[12:13]
	v_div_fixup_f64 v[0:1], v[8:9], v[0:1], 1.0
	s_delay_alu instid0(VALU_DEP_3) | instskip(NEXT) | instid1(VALU_DEP_3)
	v_fmac_f64_e32 v[14:15], v[12:13], v[4:5]
	v_fmac_f64_e32 v[6:7], v[10:11], v[4:5]
	s_delay_alu instid0(VALU_DEP_2) | instskip(NEXT) | instid1(VALU_DEP_2)
	v_mul_f64_e32 v[4:5], v[14:15], v[0:1]
	v_mul_f64_e32 v[0:1], v[6:7], v[0:1]
	ds_store_b64 v2, v[4:5] offset:6144
.LBB69_33:
	s_or_b32 exec_lo, exec_lo, s0
	ds_store_b64 v2, v[0:1] offset:6152
.LBB69_34:
	s_or_b32 exec_lo, exec_lo, s1
	v_or_b32_e32 v4, 0x1800, v22
	v_or_b32_e32 v8, 0x1c00, v22
	s_wait_dscnt 0x0
	s_barrier_signal -1
	s_barrier_wait -1
	ds_load_2addr_b64 v[4:7], v4 offset1:1
	ds_load_2addr_b64 v[8:11], v8 offset1:1
	v_lshl_add_u64 v[0:1], v[18:19], 4, s[10:11]
	v_lshl_add_u64 v[2:3], v[20:21], 4, s[10:11]
	s_wait_dscnt 0x1
	global_store_b128 v[0:1], v[4:7], off
	s_wait_dscnt 0x0
	global_store_b128 v[2:3], v[8:11], off
	s_endpgm
	.section	.rodata,"a",@progbits
	.p2align	6, 0x0
	.amdhsa_kernel _ZN9rocsparseL51gtsv_nopivot_strided_batch_crpcr_pow2_shared_kernelILj64ELj64E21rocsparse_complex_numIdEEEviiiPKT1_S5_S5_PS3_
		.amdhsa_group_segment_fixed_size 15360
		.amdhsa_private_segment_fixed_size 0
		.amdhsa_kernarg_size 48
		.amdhsa_user_sgpr_count 2
		.amdhsa_user_sgpr_dispatch_ptr 0
		.amdhsa_user_sgpr_queue_ptr 0
		.amdhsa_user_sgpr_kernarg_segment_ptr 1
		.amdhsa_user_sgpr_dispatch_id 0
		.amdhsa_user_sgpr_kernarg_preload_length 0
		.amdhsa_user_sgpr_kernarg_preload_offset 0
		.amdhsa_user_sgpr_private_segment_size 0
		.amdhsa_wavefront_size32 1
		.amdhsa_uses_dynamic_stack 0
		.amdhsa_enable_private_segment 0
		.amdhsa_system_sgpr_workgroup_id_x 1
		.amdhsa_system_sgpr_workgroup_id_y 0
		.amdhsa_system_sgpr_workgroup_id_z 0
		.amdhsa_system_sgpr_workgroup_info 0
		.amdhsa_system_vgpr_workitem_id 0
		.amdhsa_next_free_vgpr 113
		.amdhsa_next_free_sgpr 13
		.amdhsa_named_barrier_count 0
		.amdhsa_reserve_vcc 1
		.amdhsa_float_round_mode_32 0
		.amdhsa_float_round_mode_16_64 0
		.amdhsa_float_denorm_mode_32 3
		.amdhsa_float_denorm_mode_16_64 3
		.amdhsa_fp16_overflow 0
		.amdhsa_memory_ordered 1
		.amdhsa_forward_progress 1
		.amdhsa_inst_pref_size 47
		.amdhsa_round_robin_scheduling 0
		.amdhsa_exception_fp_ieee_invalid_op 0
		.amdhsa_exception_fp_denorm_src 0
		.amdhsa_exception_fp_ieee_div_zero 0
		.amdhsa_exception_fp_ieee_overflow 0
		.amdhsa_exception_fp_ieee_underflow 0
		.amdhsa_exception_fp_ieee_inexact 0
		.amdhsa_exception_int_div_zero 0
	.end_amdhsa_kernel
	.section	.text._ZN9rocsparseL51gtsv_nopivot_strided_batch_crpcr_pow2_shared_kernelILj64ELj64E21rocsparse_complex_numIdEEEviiiPKT1_S5_S5_PS3_,"axG",@progbits,_ZN9rocsparseL51gtsv_nopivot_strided_batch_crpcr_pow2_shared_kernelILj64ELj64E21rocsparse_complex_numIdEEEviiiPKT1_S5_S5_PS3_,comdat
.Lfunc_end69:
	.size	_ZN9rocsparseL51gtsv_nopivot_strided_batch_crpcr_pow2_shared_kernelILj64ELj64E21rocsparse_complex_numIdEEEviiiPKT1_S5_S5_PS3_, .Lfunc_end69-_ZN9rocsparseL51gtsv_nopivot_strided_batch_crpcr_pow2_shared_kernelILj64ELj64E21rocsparse_complex_numIdEEEviiiPKT1_S5_S5_PS3_
                                        ; -- End function
	.set _ZN9rocsparseL51gtsv_nopivot_strided_batch_crpcr_pow2_shared_kernelILj64ELj64E21rocsparse_complex_numIdEEEviiiPKT1_S5_S5_PS3_.num_vgpr, 62
	.set _ZN9rocsparseL51gtsv_nopivot_strided_batch_crpcr_pow2_shared_kernelILj64ELj64E21rocsparse_complex_numIdEEEviiiPKT1_S5_S5_PS3_.num_agpr, 0
	.set _ZN9rocsparseL51gtsv_nopivot_strided_batch_crpcr_pow2_shared_kernelILj64ELj64E21rocsparse_complex_numIdEEEviiiPKT1_S5_S5_PS3_.numbered_sgpr, 13
	.set _ZN9rocsparseL51gtsv_nopivot_strided_batch_crpcr_pow2_shared_kernelILj64ELj64E21rocsparse_complex_numIdEEEviiiPKT1_S5_S5_PS3_.num_named_barrier, 0
	.set _ZN9rocsparseL51gtsv_nopivot_strided_batch_crpcr_pow2_shared_kernelILj64ELj64E21rocsparse_complex_numIdEEEviiiPKT1_S5_S5_PS3_.private_seg_size, 0
	.set _ZN9rocsparseL51gtsv_nopivot_strided_batch_crpcr_pow2_shared_kernelILj64ELj64E21rocsparse_complex_numIdEEEviiiPKT1_S5_S5_PS3_.uses_vcc, 1
	.set _ZN9rocsparseL51gtsv_nopivot_strided_batch_crpcr_pow2_shared_kernelILj64ELj64E21rocsparse_complex_numIdEEEviiiPKT1_S5_S5_PS3_.uses_flat_scratch, 0
	.set _ZN9rocsparseL51gtsv_nopivot_strided_batch_crpcr_pow2_shared_kernelILj64ELj64E21rocsparse_complex_numIdEEEviiiPKT1_S5_S5_PS3_.has_dyn_sized_stack, 0
	.set _ZN9rocsparseL51gtsv_nopivot_strided_batch_crpcr_pow2_shared_kernelILj64ELj64E21rocsparse_complex_numIdEEEviiiPKT1_S5_S5_PS3_.has_recursion, 0
	.set _ZN9rocsparseL51gtsv_nopivot_strided_batch_crpcr_pow2_shared_kernelILj64ELj64E21rocsparse_complex_numIdEEEviiiPKT1_S5_S5_PS3_.has_indirect_call, 0
	.section	.AMDGPU.csdata,"",@progbits
; Kernel info:
; codeLenInByte = 5892
; TotalNumSgprs: 15
; NumVgprs: 62
; ScratchSize: 0
; MemoryBound: 0
; FloatMode: 240
; IeeeMode: 1
; LDSByteSize: 15360 bytes/workgroup (compile time only)
; SGPRBlocks: 0
; VGPRBlocks: 7
; NumSGPRsForWavesPerEU: 15
; NumVGPRsForWavesPerEU: 113
; NamedBarCnt: 0
; Occupancy: 8
; WaveLimiterHint : 0
; COMPUTE_PGM_RSRC2:SCRATCH_EN: 0
; COMPUTE_PGM_RSRC2:USER_SGPR: 2
; COMPUTE_PGM_RSRC2:TRAP_HANDLER: 0
; COMPUTE_PGM_RSRC2:TGID_X_EN: 1
; COMPUTE_PGM_RSRC2:TGID_Y_EN: 0
; COMPUTE_PGM_RSRC2:TGID_Z_EN: 0
; COMPUTE_PGM_RSRC2:TIDIG_COMP_CNT: 0
	.section	.text._ZN9rocsparseL51gtsv_nopivot_strided_batch_crpcr_pow2_shared_kernelILj128ELj64E21rocsparse_complex_numIdEEEviiiPKT1_S5_S5_PS3_,"axG",@progbits,_ZN9rocsparseL51gtsv_nopivot_strided_batch_crpcr_pow2_shared_kernelILj128ELj64E21rocsparse_complex_numIdEEEviiiPKT1_S5_S5_PS3_,comdat
	.globl	_ZN9rocsparseL51gtsv_nopivot_strided_batch_crpcr_pow2_shared_kernelILj128ELj64E21rocsparse_complex_numIdEEEviiiPKT1_S5_S5_PS3_ ; -- Begin function _ZN9rocsparseL51gtsv_nopivot_strided_batch_crpcr_pow2_shared_kernelILj128ELj64E21rocsparse_complex_numIdEEEviiiPKT1_S5_S5_PS3_
	.p2align	8
	.type	_ZN9rocsparseL51gtsv_nopivot_strided_batch_crpcr_pow2_shared_kernelILj128ELj64E21rocsparse_complex_numIdEEEviiiPKT1_S5_S5_PS3_,@function
_ZN9rocsparseL51gtsv_nopivot_strided_batch_crpcr_pow2_shared_kernelILj128ELj64E21rocsparse_complex_numIdEEEviiiPKT1_S5_S5_PS3_: ; @_ZN9rocsparseL51gtsv_nopivot_strided_batch_crpcr_pow2_shared_kernelILj128ELj64E21rocsparse_complex_numIdEEEviiiPKT1_S5_S5_PS3_
; %bb.0:
	s_load_b32 s2, s[0:1], 0x8
	s_bfe_u32 s3, ttmp6, 0x4000c
	s_and_b32 s12, ttmp6, 15
	s_add_co_i32 s3, s3, 1
	s_getreg_b32 s13, hwreg(HW_REG_IB_STS2, 6, 4)
	s_mul_i32 s3, ttmp9, s3
	s_load_b256 s[4:11], s[0:1], 0x10
	s_add_co_i32 s12, s12, s3
	s_cmp_eq_u32 s13, 0
	v_dual_lshlrev_b32 v22, 4, v0 :: v_dual_add_nc_u32 v4, 1, v0
	s_wait_xcnt 0x0
	s_cselect_b32 s0, ttmp9, s12
	s_delay_alu instid0(VALU_DEP_1)
	v_or_b32_e32 v1, 0x800, v22
	v_or_b32_e32 v2, 0x1000, v22
	;; [unrolled: 1-line block ×6, first 2 shown]
	s_wait_kmcnt 0x0
	v_mad_u32 v18, s2, s0, v0
	v_cmp_gt_u32_e64 s0, 0x80, v0
	v_or_b32_e32 v23, 0x4800, v22
	s_delay_alu instid0(VALU_DEP_3)
	v_add_nc_u32_e32 v20, 0x80, v18
	s_clause 0x1
	global_load_b128 v[6:9], v18, s[4:5] scale_offset
	global_load_b128 v[10:13], v20, s[4:5] scale_offset
	s_clause 0x1
	global_load_b128 v[14:17], v18, s[6:7] scale_offset
	global_load_b128 v[24:27], v20, s[6:7] scale_offset
	;; [unrolled: 3-line block ×4, first 2 shown]
	s_wait_loadcnt 0x7
	ds_store_2addr_b64 v22, v[6:7], v[8:9] offset1:1
	s_wait_loadcnt 0x6
	ds_store_2addr_b64 v1, v[10:11], v[12:13] offset1:1
	;; [unrolled: 2-line block ×8, first 2 shown]
	s_wait_dscnt 0x0
	s_barrier_signal -1
	s_barrier_wait -1
	s_and_saveexec_b32 s2, s0
	s_cbranch_execz .LBB70_2
; %bb.1:
	v_dual_lshlrev_b32 v1, 5, v4 :: v_dual_lshlrev_b32 v2, 1, v4
	ds_load_b128 v[6:9], v1 offset:4064
	ds_load_b128 v[10:13], v1 offset:4080
	v_min_u32_e32 v5, 0xff, v2
	v_subrev_nc_u32_e32 v21, 32, v1
	v_add_nc_u32_e32 v19, -16, v1
	s_wait_dscnt 0x1
	v_mul_f64_e32 v[2:3], v[8:9], v[8:9]
	s_delay_alu instid0(VALU_DEP_1) | instskip(NEXT) | instid1(VALU_DEP_1)
	v_fmac_f64_e32 v[2:3], v[6:7], v[6:7]
	v_div_scale_f64 v[28:29], null, v[2:3], v[2:3], 1.0
	v_div_scale_f64 v[34:35], vcc_lo, 1.0, v[2:3], 1.0
	s_delay_alu instid0(VALU_DEP_2) | instskip(SKIP_1) | instid1(TRANS32_DEP_1)
	v_rcp_f64_e32 v[38:39], v[28:29]
	v_nop
	v_fma_f64 v[30:31], -v[28:29], v[38:39], 1.0
	s_delay_alu instid0(VALU_DEP_1) | instskip(NEXT) | instid1(VALU_DEP_1)
	v_fmac_f64_e32 v[38:39], v[38:39], v[30:31]
	v_fma_f64 v[30:31], -v[28:29], v[38:39], 1.0
	s_delay_alu instid0(VALU_DEP_1) | instskip(NEXT) | instid1(VALU_DEP_1)
	v_fmac_f64_e32 v[38:39], v[38:39], v[30:31]
	v_dual_mul_f64 v[42:43], v[34:35], v[38:39] :: v_dual_lshlrev_b32 v5, 4, v5
	ds_load_b128 v[14:17], v5 offset:4096
	ds_load_b128 v[24:27], v5
	s_wait_dscnt 0x1
	v_mul_f64_e32 v[44:45], v[16:17], v[16:17]
	v_fma_f64 v[50:51], -v[28:29], v[42:43], v[34:35]
	ds_load_b128 v[28:31], v19
	v_fmac_f64_e32 v[44:45], v[14:15], v[14:15]
	v_div_fmas_f64 v[50:51], v[50:51], v[38:39], v[42:43]
	s_delay_alu instid0(VALU_DEP_2)
	v_div_scale_f64 v[36:37], null, v[44:45], v[44:45], 1.0
	v_div_scale_f64 v[40:41], s1, 1.0, v[44:45], 1.0
	s_mov_b32 vcc_lo, s1
	v_div_fixup_f64 v[2:3], v[50:51], v[2:3], 1.0
	v_rcp_f64_e32 v[46:47], v[36:37]
	v_nop
	s_delay_alu instid0(TRANS32_DEP_1) | instskip(NEXT) | instid1(VALU_DEP_1)
	v_fma_f64 v[32:33], -v[36:37], v[46:47], 1.0
	v_fmac_f64_e32 v[46:47], v[46:47], v[32:33]
	s_delay_alu instid0(VALU_DEP_1) | instskip(NEXT) | instid1(VALU_DEP_1)
	v_fma_f64 v[32:33], -v[36:37], v[46:47], 1.0
	v_fmac_f64_e32 v[46:47], v[46:47], v[32:33]
	ds_load_b128 v[32:35], v21
	s_wait_dscnt 0x1
	v_mul_f64_e64 v[54:55], v[8:9], -v[28:29]
	v_mul_f64_e32 v[48:49], v[40:41], v[46:47]
	s_delay_alu instid0(VALU_DEP_2) | instskip(NEXT) | instid1(VALU_DEP_2)
	v_fmac_f64_e32 v[54:55], v[30:31], v[6:7]
	v_fma_f64 v[52:53], -v[36:37], v[48:49], v[40:41]
	ds_load_b128 v[36:39], v1 offset:8176
	ds_load_b128 v[40:43], v1 offset:8160
	s_wait_dscnt 0x1
	v_mul_f64_e64 v[56:57], v[16:17], -v[36:37]
	v_mul_f64_e32 v[50:51], v[16:17], v[38:39]
	v_div_fmas_f64 v[46:47], v[52:53], v[46:47], v[48:49]
	v_mul_f64_e32 v[48:49], v[8:9], v[30:31]
	s_delay_alu instid0(VALU_DEP_4) | instskip(NEXT) | instid1(VALU_DEP_4)
	v_fmac_f64_e32 v[56:57], v[38:39], v[14:15]
	v_fmac_f64_e32 v[50:51], v[36:37], v[14:15]
	ds_load_b128 v[14:17], v1 offset:16368
	v_div_fixup_f64 v[44:45], v[46:47], v[44:45], 1.0
	v_fmac_f64_e32 v[48:49], v[28:29], v[6:7]
	v_mul_f64_e32 v[46:47], v[2:3], v[54:55]
	ds_load_b128 v[6:9], v1 offset:16352
	ds_load_b128 v[28:31], v5 offset:16384
	;; [unrolled: 1-line block ×3, first 2 shown]
	v_mul_f64_e32 v[52:53], v[44:45], v[56:57]
	v_mul_f64_e32 v[2:3], v[2:3], v[48:49]
	s_wait_dscnt 0x2
	v_mul_f64_e64 v[48:49], v[46:47], -v[8:9]
	v_mul_f64_e32 v[54:55], v[46:47], v[6:7]
	v_mul_f64_e64 v[56:57], v[46:47], -v[42:43]
	v_mul_f64_e32 v[58:59], v[46:47], v[40:41]
	v_mul_f64_e32 v[44:45], v[44:45], v[50:51]
	s_wait_dscnt 0x1
	v_mul_f64_e64 v[62:63], v[52:53], -v[30:31]
	v_mul_f64_e32 v[64:65], v[52:53], v[28:29]
	v_fmac_f64_e32 v[48:49], v[6:7], v[2:3]
	v_fmac_f64_e32 v[54:55], v[8:9], v[2:3]
	v_mul_f64_e64 v[50:51], v[52:53], -v[26:27]
	v_mul_f64_e32 v[60:61], v[52:53], v[24:25]
	v_fmac_f64_e32 v[56:57], v[40:41], v[2:3]
	v_fmac_f64_e32 v[58:59], v[42:43], v[2:3]
	v_mul_f64_e32 v[6:7], v[46:47], v[34:35]
	v_mul_f64_e64 v[8:9], v[46:47], -v[32:33]
	s_wait_dscnt 0x0
	v_mul_f64_e32 v[40:41], v[52:53], v[38:39]
	v_fmac_f64_e32 v[62:63], v[28:29], v[44:45]
	v_fmac_f64_e32 v[64:65], v[30:31], v[44:45]
	v_add_f64_e64 v[14:15], v[14:15], -v[48:49]
	v_add_f64_e64 v[16:17], v[16:17], -v[54:55]
	v_fmac_f64_e32 v[50:51], v[24:25], v[44:45]
	v_fmac_f64_e32 v[60:61], v[26:27], v[44:45]
	v_add_f64_e64 v[24:25], v[10:11], -v[56:57]
	v_add_f64_e64 v[12:13], v[12:13], -v[58:59]
	v_mul_f64_e64 v[28:29], v[52:53], -v[36:37]
	v_fma_f64 v[6:7], -v[32:33], v[2:3], v[6:7]
	v_fma_f64 v[8:9], -v[34:35], v[2:3], v[8:9]
	;; [unrolled: 1-line block ×3, first 2 shown]
	v_add_f64_e64 v[14:15], v[14:15], -v[62:63]
	v_add_f64_e64 v[16:17], v[16:17], -v[64:65]
	;; [unrolled: 1-line block ×4, first 2 shown]
	v_fma_f64 v[12:13], -v[38:39], v[44:45], v[28:29]
	ds_store_b128 v1, v[14:17] offset:16368
	ds_store_b128 v19, v[6:9]
	ds_store_b128 v1, v[24:27] offset:4080
	ds_store_b128 v1, v[10:13] offset:8176
.LBB70_2:
	s_or_b32 exec_lo, exec_lo, s2
	v_cmp_gt_u32_e64 s1, 64, v0
	v_lshlrev_b32_e32 v1, 6, v4
	s_wait_dscnt 0x0
	s_barrier_signal -1
	s_barrier_wait -1
	s_and_saveexec_b32 s3, s1
	s_cbranch_execz .LBB70_4
; %bb.3:
	ds_load_b128 v[6:9], v1 offset:4048
	ds_load_b128 v[10:13], v1 offset:4080
	v_lshl_or_b32 v2, v4, 2, 1
	v_subrev_nc_u32_e32 v21, 48, v1
	v_add_nc_u32_e32 v19, -16, v1
	s_delay_alu instid0(VALU_DEP_3) | instskip(SKIP_2) | instid1(VALU_DEP_1)
	v_min_u32_e32 v5, 0xff, v2
	s_wait_dscnt 0x1
	v_mul_f64_e32 v[2:3], v[8:9], v[8:9]
	v_fmac_f64_e32 v[2:3], v[6:7], v[6:7]
	s_delay_alu instid0(VALU_DEP_1) | instskip(SKIP_1) | instid1(VALU_DEP_2)
	v_div_scale_f64 v[28:29], null, v[2:3], v[2:3], 1.0
	v_div_scale_f64 v[34:35], vcc_lo, 1.0, v[2:3], 1.0
	v_rcp_f64_e32 v[38:39], v[28:29]
	v_nop
	s_delay_alu instid0(TRANS32_DEP_1) | instskip(NEXT) | instid1(VALU_DEP_1)
	v_fma_f64 v[30:31], -v[28:29], v[38:39], 1.0
	v_fmac_f64_e32 v[38:39], v[38:39], v[30:31]
	s_delay_alu instid0(VALU_DEP_1) | instskip(NEXT) | instid1(VALU_DEP_1)
	v_fma_f64 v[30:31], -v[28:29], v[38:39], 1.0
	v_fmac_f64_e32 v[38:39], v[38:39], v[30:31]
	s_delay_alu instid0(VALU_DEP_1)
	v_dual_mul_f64 v[42:43], v[34:35], v[38:39] :: v_dual_lshlrev_b32 v5, 4, v5
	ds_load_b128 v[14:17], v5 offset:4096
	ds_load_b128 v[24:27], v5
	s_wait_dscnt 0x1
	v_mul_f64_e32 v[44:45], v[16:17], v[16:17]
	v_fma_f64 v[50:51], -v[28:29], v[42:43], v[34:35]
	ds_load_b128 v[28:31], v19
	v_fmac_f64_e32 v[44:45], v[14:15], v[14:15]
	v_div_fmas_f64 v[50:51], v[50:51], v[38:39], v[42:43]
	s_delay_alu instid0(VALU_DEP_2)
	v_div_scale_f64 v[36:37], null, v[44:45], v[44:45], 1.0
	v_div_scale_f64 v[40:41], s2, 1.0, v[44:45], 1.0
	s_mov_b32 vcc_lo, s2
	v_div_fixup_f64 v[2:3], v[50:51], v[2:3], 1.0
	v_rcp_f64_e32 v[46:47], v[36:37]
	v_nop
	s_delay_alu instid0(TRANS32_DEP_1) | instskip(NEXT) | instid1(VALU_DEP_1)
	v_fma_f64 v[32:33], -v[36:37], v[46:47], 1.0
	v_fmac_f64_e32 v[46:47], v[46:47], v[32:33]
	s_delay_alu instid0(VALU_DEP_1) | instskip(NEXT) | instid1(VALU_DEP_1)
	v_fma_f64 v[32:33], -v[36:37], v[46:47], 1.0
	v_fmac_f64_e32 v[46:47], v[46:47], v[32:33]
	ds_load_b128 v[32:35], v21
	s_wait_dscnt 0x1
	v_mul_f64_e64 v[54:55], v[8:9], -v[28:29]
	v_mul_f64_e32 v[48:49], v[40:41], v[46:47]
	s_delay_alu instid0(VALU_DEP_2) | instskip(NEXT) | instid1(VALU_DEP_2)
	v_fmac_f64_e32 v[54:55], v[30:31], v[6:7]
	v_fma_f64 v[52:53], -v[36:37], v[48:49], v[40:41]
	ds_load_b128 v[36:39], v1 offset:8176
	ds_load_b128 v[40:43], v1 offset:8144
	s_wait_dscnt 0x1
	v_mul_f64_e64 v[56:57], v[16:17], -v[36:37]
	v_mul_f64_e32 v[50:51], v[16:17], v[38:39]
	v_div_fmas_f64 v[46:47], v[52:53], v[46:47], v[48:49]
	v_mul_f64_e32 v[48:49], v[8:9], v[30:31]
	s_delay_alu instid0(VALU_DEP_4) | instskip(NEXT) | instid1(VALU_DEP_4)
	v_fmac_f64_e32 v[56:57], v[38:39], v[14:15]
	v_fmac_f64_e32 v[50:51], v[36:37], v[14:15]
	ds_load_b128 v[14:17], v1 offset:16368
	v_div_fixup_f64 v[44:45], v[46:47], v[44:45], 1.0
	v_fmac_f64_e32 v[48:49], v[28:29], v[6:7]
	v_mul_f64_e32 v[46:47], v[2:3], v[54:55]
	ds_load_b128 v[6:9], v1 offset:16336
	ds_load_b128 v[28:31], v5 offset:16384
	;; [unrolled: 1-line block ×3, first 2 shown]
	v_mul_f64_e32 v[52:53], v[44:45], v[56:57]
	v_mul_f64_e32 v[2:3], v[2:3], v[48:49]
	s_wait_dscnt 0x4
	v_mul_f64_e64 v[48:49], v[46:47], -v[42:43]
	v_mul_f64_e32 v[54:55], v[46:47], v[40:41]
	s_wait_dscnt 0x2
	v_mul_f64_e64 v[56:57], v[46:47], -v[8:9]
	v_mul_f64_e32 v[58:59], v[46:47], v[6:7]
	v_mul_f64_e32 v[44:45], v[44:45], v[50:51]
	v_mul_f64_e64 v[50:51], v[52:53], -v[26:27]
	v_mul_f64_e32 v[60:61], v[52:53], v[24:25]
	v_fmac_f64_e32 v[48:49], v[40:41], v[2:3]
	v_fmac_f64_e32 v[54:55], v[42:43], v[2:3]
	s_wait_dscnt 0x1
	v_mul_f64_e64 v[62:63], v[52:53], -v[30:31]
	v_mul_f64_e32 v[64:65], v[52:53], v[28:29]
	v_fmac_f64_e32 v[56:57], v[6:7], v[2:3]
	v_fmac_f64_e32 v[58:59], v[8:9], v[2:3]
	v_mul_f64_e32 v[6:7], v[46:47], v[34:35]
	v_mul_f64_e64 v[8:9], v[46:47], -v[32:33]
	s_wait_dscnt 0x0
	v_mul_f64_e32 v[40:41], v[52:53], v[38:39]
	v_fmac_f64_e32 v[50:51], v[24:25], v[44:45]
	v_fmac_f64_e32 v[60:61], v[26:27], v[44:45]
	v_add_f64_e64 v[24:25], v[10:11], -v[48:49]
	v_add_f64_e64 v[12:13], v[12:13], -v[54:55]
	v_fmac_f64_e32 v[62:63], v[28:29], v[44:45]
	v_fmac_f64_e32 v[64:65], v[30:31], v[44:45]
	v_add_f64_e64 v[26:27], v[14:15], -v[56:57]
	v_add_f64_e64 v[28:29], v[16:17], -v[58:59]
	v_mul_f64_e64 v[30:31], v[52:53], -v[36:37]
	v_fma_f64 v[6:7], -v[32:33], v[2:3], v[6:7]
	v_fma_f64 v[8:9], -v[34:35], v[2:3], v[8:9]
	;; [unrolled: 1-line block ×3, first 2 shown]
	v_add_f64_e64 v[14:15], v[24:25], -v[50:51]
	v_add_f64_e64 v[16:17], v[12:13], -v[60:61]
	;; [unrolled: 1-line block ×4, first 2 shown]
	v_fma_f64 v[12:13], -v[38:39], v[44:45], v[30:31]
	ds_store_b128 v1, v[14:17] offset:4080
	ds_store_b128 v19, v[6:9]
	ds_store_b128 v1, v[24:27] offset:16368
	ds_store_b128 v1, v[10:13] offset:8176
.LBB70_4:
	s_or_b32 exec_lo, exec_lo, s3
	s_wait_dscnt 0x0
	s_barrier_signal -1
	s_barrier_wait -1
	s_and_saveexec_b32 s2, s1
	s_cbranch_execz .LBB70_6
; %bb.5:
	v_add_nc_u32_e32 v2, -16, v1
	ds_load_b128 v[6:9], v2
	ds_load_b128 v[10:13], v1 offset:4080
	ds_load_b128 v[14:17], v1 offset:8176
	;; [unrolled: 1-line block ×3, first 2 shown]
	s_wait_dscnt 0x3
	ds_store_b128 v22, v[6:9] offset:20480
	s_wait_dscnt 0x3
	ds_store_b128 v22, v[10:13] offset:21504
	;; [unrolled: 2-line block ×4, first 2 shown]
.LBB70_6:
	s_or_b32 exec_lo, exec_lo, s2
	v_or_b32_e32 v23, 0x5000, v22
	v_or_b32_e32 v21, 0x5800, v22
	v_add_nc_u32_e32 v24, 0x5400, v22
	v_or_b32_e32 v19, 0x6000, v22
	s_wait_dscnt 0x0
	s_barrier_signal -1
	s_barrier_wait -1
                                        ; implicit-def: $vgpr14_vgpr15
                                        ; implicit-def: $vgpr6_vgpr7
                                        ; implicit-def: $vgpr10_vgpr11
                                        ; implicit-def: $vgpr2_vgpr3
	s_and_saveexec_b32 s3, s1
	s_cbranch_execz .LBB70_8
; %bb.7:
	v_sub_nc_u32_e64 v2, v0, 1 clamp
	v_min_u32_e32 v10, 63, v4
	s_delay_alu instid0(VALU_DEP_2) | instskip(NEXT) | instid1(VALU_DEP_2)
	v_lshlrev_b32_e32 v25, 4, v2
	v_lshlrev_b32_e32 v52, 4, v10
	ds_load_b128 v[6:9], v25 offset:21504
	ds_load_b128 v[2:5], v25 offset:20480
	;; [unrolled: 1-line block ×4, first 2 shown]
	s_wait_dscnt 0x3
	v_mul_f64_e32 v[34:35], v[8:9], v[8:9]
	s_wait_dscnt 0x1
	v_mul_f64_e32 v[36:37], v[12:13], v[12:13]
	s_delay_alu instid0(VALU_DEP_2) | instskip(NEXT) | instid1(VALU_DEP_2)
	v_fmac_f64_e32 v[34:35], v[6:7], v[6:7]
	v_fmac_f64_e32 v[36:37], v[10:11], v[10:11]
	s_delay_alu instid0(VALU_DEP_2) | instskip(NEXT) | instid1(VALU_DEP_2)
	v_div_scale_f64 v[26:27], null, v[34:35], v[34:35], 1.0
	v_div_scale_f64 v[38:39], null, v[36:37], v[36:37], 1.0
	v_div_scale_f64 v[32:33], vcc_lo, 1.0, v[34:35], 1.0
	v_div_scale_f64 v[44:45], s2, 1.0, v[36:37], 1.0
	s_delay_alu instid0(VALU_DEP_4) | instskip(NEXT) | instid1(VALU_DEP_3)
	v_rcp_f64_e32 v[40:41], v[26:27]
	v_rcp_f64_e32 v[42:43], v[38:39]
	s_delay_alu instid0(TRANS32_DEP_2) | instskip(NEXT) | instid1(TRANS32_DEP_1)
	v_fma_f64 v[28:29], -v[26:27], v[40:41], 1.0
	v_fma_f64 v[30:31], -v[38:39], v[42:43], 1.0
	s_delay_alu instid0(VALU_DEP_2) | instskip(NEXT) | instid1(VALU_DEP_2)
	v_fmac_f64_e32 v[40:41], v[40:41], v[28:29]
	v_fmac_f64_e32 v[42:43], v[42:43], v[30:31]
	s_delay_alu instid0(VALU_DEP_2) | instskip(NEXT) | instid1(VALU_DEP_2)
	v_fma_f64 v[28:29], -v[26:27], v[40:41], 1.0
	v_fma_f64 v[30:31], -v[38:39], v[42:43], 1.0
	s_delay_alu instid0(VALU_DEP_2) | instskip(NEXT) | instid1(VALU_DEP_2)
	v_fmac_f64_e32 v[40:41], v[40:41], v[28:29]
	v_fmac_f64_e32 v[42:43], v[42:43], v[30:31]
	s_delay_alu instid0(VALU_DEP_2) | instskip(NEXT) | instid1(VALU_DEP_2)
	v_mul_f64_e32 v[46:47], v[32:33], v[40:41]
	v_mul_f64_e32 v[48:49], v[44:45], v[42:43]
	s_delay_alu instid0(VALU_DEP_2)
	v_fma_f64 v[50:51], -v[26:27], v[46:47], v[32:33]
	ds_load_b128 v[26:29], v23
	ds_load_b128 v[30:33], v21
	v_fma_f64 v[38:39], -v[38:39], v[48:49], v[44:45]
	s_wait_dscnt 0x1
	v_mul_f64_e64 v[44:45], v[8:9], -v[26:27]
	v_div_fmas_f64 v[40:41], v[50:51], v[40:41], v[46:47]
	s_mov_b32 vcc_lo, s2
	s_wait_dscnt 0x0
	v_mul_f64_e64 v[46:47], v[12:13], -v[30:31]
	s_delay_alu instid0(VALU_DEP_4)
	v_div_fmas_f64 v[38:39], v[38:39], v[42:43], v[48:49]
	v_mul_f64_e32 v[42:43], v[8:9], v[28:29]
	v_fmac_f64_e32 v[44:45], v[28:29], v[6:7]
	v_div_fixup_f64 v[34:35], v[40:41], v[34:35], 1.0
	v_mul_f64_e32 v[40:41], v[12:13], v[32:33]
	v_fmac_f64_e32 v[46:47], v[32:33], v[10:11]
	v_div_fixup_f64 v[36:37], v[38:39], v[36:37], 1.0
	v_fmac_f64_e32 v[42:43], v[26:27], v[6:7]
	ds_load_b128 v[6:9], v25 offset:22528
	ds_load_b128 v[26:29], v25 offset:24576
	v_mul_f64_e32 v[38:39], v[34:35], v[44:45]
	v_fmac_f64_e32 v[40:41], v[30:31], v[10:11]
	ds_load_b128 v[10:13], v52 offset:24576
	ds_load_b128 v[30:33], v52 offset:22528
	v_mul_f64_e32 v[44:45], v[36:37], v[46:47]
	v_mul_f64_e32 v[34:35], v[34:35], v[42:43]
	s_wait_dscnt 0x3
	v_mul_f64_e64 v[42:43], v[38:39], -v[8:9]
	v_mul_f64_e32 v[46:47], v[38:39], v[6:7]
	s_wait_dscnt 0x2
	v_mul_f64_e64 v[48:49], v[38:39], -v[28:29]
	v_mul_f64_e32 v[50:51], v[38:39], v[26:27]
	v_mul_f64_e32 v[36:37], v[36:37], v[40:41]
	v_mul_f64_e64 v[40:41], v[44:45], -v[16:17]
	v_mul_f64_e32 v[52:53], v[44:45], v[14:15]
	s_wait_dscnt 0x1
	v_mul_f64_e64 v[54:55], v[44:45], -v[12:13]
	v_mul_f64_e32 v[56:57], v[44:45], v[10:11]
	v_mul_f64_e32 v[58:59], v[38:39], v[4:5]
	v_mul_f64_e64 v[38:39], v[38:39], -v[2:3]
	s_wait_dscnt 0x0
	v_mul_f64_e32 v[60:61], v[44:45], v[32:33]
	v_fmac_f64_e32 v[42:43], v[6:7], v[34:35]
	v_fmac_f64_e32 v[46:47], v[8:9], v[34:35]
	;; [unrolled: 1-line block ×4, first 2 shown]
	ds_load_b128 v[6:9], v24
	ds_load_b128 v[26:29], v19
	v_fmac_f64_e32 v[40:41], v[14:15], v[36:37]
	v_fmac_f64_e32 v[52:53], v[16:17], v[36:37]
	;; [unrolled: 1-line block ×4, first 2 shown]
	v_fma_f64 v[2:3], -v[2:3], v[34:35], v[58:59]
	v_fma_f64 v[4:5], -v[4:5], v[34:35], v[38:39]
	s_wait_dscnt 0x1
	v_add_f64_e64 v[10:11], v[6:7], -v[42:43]
	v_add_f64_e64 v[8:9], v[8:9], -v[46:47]
	s_wait_dscnt 0x0
	v_add_f64_e64 v[14:15], v[26:27], -v[48:49]
	v_add_f64_e64 v[16:17], v[28:29], -v[50:51]
	v_mul_f64_e64 v[26:27], v[44:45], -v[30:31]
	v_fma_f64 v[6:7], -v[30:31], v[36:37], v[60:61]
	v_add_f64_e64 v[10:11], v[10:11], -v[40:41]
	v_add_f64_e64 v[12:13], v[8:9], -v[52:53]
	;; [unrolled: 1-line block ×4, first 2 shown]
	v_fma_f64 v[8:9], -v[32:33], v[36:37], v[26:27]
.LBB70_8:
	s_or_b32 exec_lo, exec_lo, s3
	s_barrier_signal -1
	s_barrier_wait -1
	s_and_saveexec_b32 s2, s1
	s_cbranch_execz .LBB70_10
; %bb.9:
	ds_store_b128 v24, v[10:13]
	ds_store_b128 v19, v[14:17]
	;; [unrolled: 1-line block ×4, first 2 shown]
.LBB70_10:
	s_or_b32 exec_lo, exec_lo, s2
	s_wait_dscnt 0x0
	s_barrier_signal -1
	s_barrier_wait -1
	s_and_saveexec_b32 s3, s1
	s_cbranch_execz .LBB70_12
; %bb.11:
	v_sub_nc_u32_e64 v2, v0, 2 clamp
	v_min_u32_e32 v10, 61, v0
	s_delay_alu instid0(VALU_DEP_2) | instskip(NEXT) | instid1(VALU_DEP_2)
	v_lshlrev_b32_e32 v25, 4, v2
	v_lshlrev_b32_e32 v52, 4, v10
	ds_load_b128 v[2:5], v25 offset:21504
	ds_load_b128 v[6:9], v25 offset:20480
	;; [unrolled: 1-line block ×4, first 2 shown]
	s_wait_dscnt 0x3
	v_mul_f64_e32 v[34:35], v[4:5], v[4:5]
	s_wait_dscnt 0x1
	v_mul_f64_e32 v[36:37], v[12:13], v[12:13]
	s_delay_alu instid0(VALU_DEP_2) | instskip(NEXT) | instid1(VALU_DEP_2)
	v_fmac_f64_e32 v[34:35], v[2:3], v[2:3]
	v_fmac_f64_e32 v[36:37], v[10:11], v[10:11]
	s_delay_alu instid0(VALU_DEP_2) | instskip(NEXT) | instid1(VALU_DEP_2)
	v_div_scale_f64 v[26:27], null, v[34:35], v[34:35], 1.0
	v_div_scale_f64 v[38:39], null, v[36:37], v[36:37], 1.0
	v_div_scale_f64 v[32:33], vcc_lo, 1.0, v[34:35], 1.0
	v_div_scale_f64 v[44:45], s2, 1.0, v[36:37], 1.0
	s_delay_alu instid0(VALU_DEP_4) | instskip(NEXT) | instid1(VALU_DEP_3)
	v_rcp_f64_e32 v[40:41], v[26:27]
	v_rcp_f64_e32 v[42:43], v[38:39]
	s_delay_alu instid0(TRANS32_DEP_2) | instskip(NEXT) | instid1(TRANS32_DEP_1)
	v_fma_f64 v[28:29], -v[26:27], v[40:41], 1.0
	v_fma_f64 v[30:31], -v[38:39], v[42:43], 1.0
	s_delay_alu instid0(VALU_DEP_2) | instskip(NEXT) | instid1(VALU_DEP_2)
	v_fmac_f64_e32 v[40:41], v[40:41], v[28:29]
	v_fmac_f64_e32 v[42:43], v[42:43], v[30:31]
	s_delay_alu instid0(VALU_DEP_2) | instskip(NEXT) | instid1(VALU_DEP_2)
	v_fma_f64 v[28:29], -v[26:27], v[40:41], 1.0
	v_fma_f64 v[30:31], -v[38:39], v[42:43], 1.0
	s_delay_alu instid0(VALU_DEP_2) | instskip(NEXT) | instid1(VALU_DEP_2)
	v_fmac_f64_e32 v[40:41], v[40:41], v[28:29]
	v_fmac_f64_e32 v[42:43], v[42:43], v[30:31]
	s_delay_alu instid0(VALU_DEP_2) | instskip(NEXT) | instid1(VALU_DEP_2)
	v_mul_f64_e32 v[46:47], v[32:33], v[40:41]
	v_mul_f64_e32 v[48:49], v[44:45], v[42:43]
	s_delay_alu instid0(VALU_DEP_2)
	v_fma_f64 v[50:51], -v[26:27], v[46:47], v[32:33]
	ds_load_b128 v[26:29], v23
	ds_load_b128 v[30:33], v21
	v_fma_f64 v[38:39], -v[38:39], v[48:49], v[44:45]
	s_wait_dscnt 0x1
	v_mul_f64_e64 v[44:45], v[4:5], -v[26:27]
	v_div_fmas_f64 v[40:41], v[50:51], v[40:41], v[46:47]
	s_mov_b32 vcc_lo, s2
	s_wait_dscnt 0x0
	v_mul_f64_e64 v[46:47], v[12:13], -v[30:31]
	s_delay_alu instid0(VALU_DEP_4)
	v_div_fmas_f64 v[38:39], v[38:39], v[42:43], v[48:49]
	v_mul_f64_e32 v[42:43], v[4:5], v[28:29]
	v_fmac_f64_e32 v[44:45], v[28:29], v[2:3]
	v_div_fixup_f64 v[34:35], v[40:41], v[34:35], 1.0
	v_mul_f64_e32 v[40:41], v[12:13], v[32:33]
	v_fmac_f64_e32 v[46:47], v[32:33], v[10:11]
	v_div_fixup_f64 v[36:37], v[38:39], v[36:37], 1.0
	v_fmac_f64_e32 v[42:43], v[26:27], v[2:3]
	ds_load_b128 v[2:5], v25 offset:22528
	ds_load_b128 v[26:29], v25 offset:24576
	v_mul_f64_e32 v[38:39], v[34:35], v[44:45]
	v_fmac_f64_e32 v[40:41], v[30:31], v[10:11]
	ds_load_b128 v[10:13], v52 offset:24608
	ds_load_b128 v[30:33], v52 offset:22560
	v_mul_f64_e32 v[44:45], v[36:37], v[46:47]
	v_mul_f64_e32 v[34:35], v[34:35], v[42:43]
	s_wait_dscnt 0x3
	v_mul_f64_e64 v[42:43], v[38:39], -v[4:5]
	v_mul_f64_e32 v[46:47], v[38:39], v[2:3]
	s_wait_dscnt 0x2
	v_mul_f64_e64 v[48:49], v[38:39], -v[28:29]
	v_mul_f64_e32 v[50:51], v[38:39], v[26:27]
	v_mul_f64_e32 v[36:37], v[36:37], v[40:41]
	v_mul_f64_e64 v[40:41], v[44:45], -v[16:17]
	v_mul_f64_e32 v[52:53], v[44:45], v[14:15]
	s_wait_dscnt 0x1
	v_mul_f64_e64 v[54:55], v[44:45], -v[12:13]
	v_mul_f64_e32 v[56:57], v[44:45], v[10:11]
	v_mul_f64_e32 v[58:59], v[38:39], v[8:9]
	v_mul_f64_e64 v[38:39], v[38:39], -v[6:7]
	s_wait_dscnt 0x0
	v_mul_f64_e32 v[60:61], v[44:45], v[32:33]
	v_fmac_f64_e32 v[42:43], v[2:3], v[34:35]
	v_fmac_f64_e32 v[46:47], v[4:5], v[34:35]
	;; [unrolled: 1-line block ×4, first 2 shown]
	ds_load_b128 v[2:5], v24
	ds_load_b128 v[26:29], v19
	v_fmac_f64_e32 v[40:41], v[14:15], v[36:37]
	v_fmac_f64_e32 v[52:53], v[16:17], v[36:37]
	;; [unrolled: 1-line block ×4, first 2 shown]
	s_wait_dscnt 0x1
	v_add_f64_e64 v[10:11], v[2:3], -v[42:43]
	v_add_f64_e64 v[12:13], v[4:5], -v[46:47]
	s_wait_dscnt 0x0
	v_add_f64_e64 v[14:15], v[26:27], -v[48:49]
	v_add_f64_e64 v[16:17], v[28:29], -v[50:51]
	v_mul_f64_e64 v[26:27], v[44:45], -v[30:31]
	v_fma_f64 v[2:3], -v[6:7], v[34:35], v[58:59]
	v_fma_f64 v[4:5], -v[8:9], v[34:35], v[38:39]
	;; [unrolled: 1-line block ×3, first 2 shown]
	v_add_f64_e64 v[10:11], v[10:11], -v[40:41]
	v_add_f64_e64 v[12:13], v[12:13], -v[52:53]
	;; [unrolled: 1-line block ×4, first 2 shown]
	v_fma_f64 v[8:9], -v[32:33], v[36:37], v[26:27]
.LBB70_12:
	s_or_b32 exec_lo, exec_lo, s3
	s_barrier_signal -1
	s_barrier_wait -1
	s_and_saveexec_b32 s2, s1
	s_cbranch_execz .LBB70_14
; %bb.13:
	ds_store_b128 v24, v[10:13]
	ds_store_b128 v19, v[14:17]
	;; [unrolled: 1-line block ×4, first 2 shown]
.LBB70_14:
	s_or_b32 exec_lo, exec_lo, s2
	s_wait_dscnt 0x0
	s_barrier_signal -1
	s_barrier_wait -1
	s_and_saveexec_b32 s3, s1
	s_cbranch_execz .LBB70_16
; %bb.15:
	v_sub_nc_u32_e64 v2, v0, 4 clamp
	v_min_u32_e32 v10, 59, v0
	s_delay_alu instid0(VALU_DEP_2) | instskip(NEXT) | instid1(VALU_DEP_2)
	v_lshlrev_b32_e32 v25, 4, v2
	v_lshlrev_b32_e32 v52, 4, v10
	ds_load_b128 v[2:5], v25 offset:21504
	ds_load_b128 v[6:9], v25 offset:20480
	;; [unrolled: 1-line block ×4, first 2 shown]
	s_wait_dscnt 0x3
	v_mul_f64_e32 v[34:35], v[4:5], v[4:5]
	s_wait_dscnt 0x1
	v_mul_f64_e32 v[36:37], v[12:13], v[12:13]
	s_delay_alu instid0(VALU_DEP_2) | instskip(NEXT) | instid1(VALU_DEP_2)
	v_fmac_f64_e32 v[34:35], v[2:3], v[2:3]
	v_fmac_f64_e32 v[36:37], v[10:11], v[10:11]
	s_delay_alu instid0(VALU_DEP_2) | instskip(NEXT) | instid1(VALU_DEP_2)
	v_div_scale_f64 v[26:27], null, v[34:35], v[34:35], 1.0
	v_div_scale_f64 v[38:39], null, v[36:37], v[36:37], 1.0
	v_div_scale_f64 v[32:33], vcc_lo, 1.0, v[34:35], 1.0
	v_div_scale_f64 v[44:45], s2, 1.0, v[36:37], 1.0
	s_delay_alu instid0(VALU_DEP_4) | instskip(NEXT) | instid1(VALU_DEP_3)
	v_rcp_f64_e32 v[40:41], v[26:27]
	v_rcp_f64_e32 v[42:43], v[38:39]
	s_delay_alu instid0(TRANS32_DEP_2) | instskip(NEXT) | instid1(TRANS32_DEP_1)
	v_fma_f64 v[28:29], -v[26:27], v[40:41], 1.0
	v_fma_f64 v[30:31], -v[38:39], v[42:43], 1.0
	s_delay_alu instid0(VALU_DEP_2) | instskip(NEXT) | instid1(VALU_DEP_2)
	v_fmac_f64_e32 v[40:41], v[40:41], v[28:29]
	v_fmac_f64_e32 v[42:43], v[42:43], v[30:31]
	s_delay_alu instid0(VALU_DEP_2) | instskip(NEXT) | instid1(VALU_DEP_2)
	v_fma_f64 v[28:29], -v[26:27], v[40:41], 1.0
	v_fma_f64 v[30:31], -v[38:39], v[42:43], 1.0
	s_delay_alu instid0(VALU_DEP_2) | instskip(NEXT) | instid1(VALU_DEP_2)
	v_fmac_f64_e32 v[40:41], v[40:41], v[28:29]
	v_fmac_f64_e32 v[42:43], v[42:43], v[30:31]
	s_delay_alu instid0(VALU_DEP_2) | instskip(NEXT) | instid1(VALU_DEP_2)
	v_mul_f64_e32 v[46:47], v[32:33], v[40:41]
	v_mul_f64_e32 v[48:49], v[44:45], v[42:43]
	s_delay_alu instid0(VALU_DEP_2)
	v_fma_f64 v[50:51], -v[26:27], v[46:47], v[32:33]
	ds_load_b128 v[26:29], v23
	ds_load_b128 v[30:33], v21
	v_fma_f64 v[38:39], -v[38:39], v[48:49], v[44:45]
	s_wait_dscnt 0x1
	v_mul_f64_e64 v[44:45], v[4:5], -v[26:27]
	v_div_fmas_f64 v[40:41], v[50:51], v[40:41], v[46:47]
	s_mov_b32 vcc_lo, s2
	s_wait_dscnt 0x0
	v_mul_f64_e64 v[46:47], v[12:13], -v[30:31]
	s_delay_alu instid0(VALU_DEP_4)
	v_div_fmas_f64 v[38:39], v[38:39], v[42:43], v[48:49]
	v_mul_f64_e32 v[42:43], v[4:5], v[28:29]
	v_fmac_f64_e32 v[44:45], v[28:29], v[2:3]
	v_div_fixup_f64 v[34:35], v[40:41], v[34:35], 1.0
	v_mul_f64_e32 v[40:41], v[12:13], v[32:33]
	v_fmac_f64_e32 v[46:47], v[32:33], v[10:11]
	v_div_fixup_f64 v[36:37], v[38:39], v[36:37], 1.0
	v_fmac_f64_e32 v[42:43], v[26:27], v[2:3]
	ds_load_b128 v[2:5], v25 offset:22528
	ds_load_b128 v[26:29], v25 offset:24576
	v_mul_f64_e32 v[38:39], v[34:35], v[44:45]
	v_fmac_f64_e32 v[40:41], v[30:31], v[10:11]
	ds_load_b128 v[10:13], v52 offset:24640
	ds_load_b128 v[30:33], v52 offset:22592
	v_mul_f64_e32 v[44:45], v[36:37], v[46:47]
	v_mul_f64_e32 v[34:35], v[34:35], v[42:43]
	s_wait_dscnt 0x3
	v_mul_f64_e64 v[42:43], v[38:39], -v[4:5]
	v_mul_f64_e32 v[46:47], v[38:39], v[2:3]
	s_wait_dscnt 0x2
	v_mul_f64_e64 v[48:49], v[38:39], -v[28:29]
	v_mul_f64_e32 v[50:51], v[38:39], v[26:27]
	v_mul_f64_e32 v[36:37], v[36:37], v[40:41]
	v_mul_f64_e64 v[40:41], v[44:45], -v[16:17]
	v_mul_f64_e32 v[52:53], v[44:45], v[14:15]
	s_wait_dscnt 0x1
	v_mul_f64_e64 v[54:55], v[44:45], -v[12:13]
	v_mul_f64_e32 v[56:57], v[44:45], v[10:11]
	v_mul_f64_e32 v[58:59], v[38:39], v[8:9]
	v_mul_f64_e64 v[38:39], v[38:39], -v[6:7]
	s_wait_dscnt 0x0
	v_mul_f64_e32 v[60:61], v[44:45], v[32:33]
	v_fmac_f64_e32 v[42:43], v[2:3], v[34:35]
	v_fmac_f64_e32 v[46:47], v[4:5], v[34:35]
	;; [unrolled: 1-line block ×4, first 2 shown]
	ds_load_b128 v[2:5], v24
	ds_load_b128 v[26:29], v19
	v_fmac_f64_e32 v[40:41], v[14:15], v[36:37]
	v_fmac_f64_e32 v[52:53], v[16:17], v[36:37]
	;; [unrolled: 1-line block ×4, first 2 shown]
	s_wait_dscnt 0x1
	v_add_f64_e64 v[10:11], v[2:3], -v[42:43]
	v_add_f64_e64 v[12:13], v[4:5], -v[46:47]
	s_wait_dscnt 0x0
	v_add_f64_e64 v[14:15], v[26:27], -v[48:49]
	v_add_f64_e64 v[16:17], v[28:29], -v[50:51]
	v_mul_f64_e64 v[26:27], v[44:45], -v[30:31]
	v_fma_f64 v[2:3], -v[6:7], v[34:35], v[58:59]
	v_fma_f64 v[4:5], -v[8:9], v[34:35], v[38:39]
	v_fma_f64 v[6:7], -v[30:31], v[36:37], v[60:61]
	v_add_f64_e64 v[10:11], v[10:11], -v[40:41]
	v_add_f64_e64 v[12:13], v[12:13], -v[52:53]
	;; [unrolled: 1-line block ×4, first 2 shown]
	v_fma_f64 v[8:9], -v[32:33], v[36:37], v[26:27]
.LBB70_16:
	s_or_b32 exec_lo, exec_lo, s3
	s_barrier_signal -1
	s_barrier_wait -1
	s_and_saveexec_b32 s2, s1
	s_cbranch_execz .LBB70_18
; %bb.17:
	ds_store_b128 v24, v[10:13]
	ds_store_b128 v19, v[14:17]
	;; [unrolled: 1-line block ×4, first 2 shown]
.LBB70_18:
	s_or_b32 exec_lo, exec_lo, s2
	s_wait_dscnt 0x0
	s_barrier_signal -1
	s_barrier_wait -1
	s_and_saveexec_b32 s3, s1
	s_cbranch_execz .LBB70_20
; %bb.19:
	v_sub_nc_u32_e64 v2, v0, 8 clamp
	v_min_u32_e32 v10, 55, v0
	s_delay_alu instid0(VALU_DEP_2) | instskip(NEXT) | instid1(VALU_DEP_2)
	v_lshlrev_b32_e32 v25, 4, v2
	v_lshlrev_b32_e32 v52, 4, v10
	ds_load_b128 v[2:5], v25 offset:21504
	ds_load_b128 v[6:9], v25 offset:20480
	;; [unrolled: 1-line block ×4, first 2 shown]
	s_wait_dscnt 0x3
	v_mul_f64_e32 v[34:35], v[4:5], v[4:5]
	s_wait_dscnt 0x1
	v_mul_f64_e32 v[36:37], v[12:13], v[12:13]
	s_delay_alu instid0(VALU_DEP_2) | instskip(NEXT) | instid1(VALU_DEP_2)
	v_fmac_f64_e32 v[34:35], v[2:3], v[2:3]
	v_fmac_f64_e32 v[36:37], v[10:11], v[10:11]
	s_delay_alu instid0(VALU_DEP_2) | instskip(NEXT) | instid1(VALU_DEP_2)
	v_div_scale_f64 v[26:27], null, v[34:35], v[34:35], 1.0
	v_div_scale_f64 v[38:39], null, v[36:37], v[36:37], 1.0
	v_div_scale_f64 v[32:33], vcc_lo, 1.0, v[34:35], 1.0
	v_div_scale_f64 v[44:45], s2, 1.0, v[36:37], 1.0
	s_delay_alu instid0(VALU_DEP_4) | instskip(NEXT) | instid1(VALU_DEP_3)
	v_rcp_f64_e32 v[40:41], v[26:27]
	v_rcp_f64_e32 v[42:43], v[38:39]
	s_delay_alu instid0(TRANS32_DEP_2) | instskip(NEXT) | instid1(TRANS32_DEP_1)
	v_fma_f64 v[28:29], -v[26:27], v[40:41], 1.0
	v_fma_f64 v[30:31], -v[38:39], v[42:43], 1.0
	s_delay_alu instid0(VALU_DEP_2) | instskip(NEXT) | instid1(VALU_DEP_2)
	v_fmac_f64_e32 v[40:41], v[40:41], v[28:29]
	v_fmac_f64_e32 v[42:43], v[42:43], v[30:31]
	s_delay_alu instid0(VALU_DEP_2) | instskip(NEXT) | instid1(VALU_DEP_2)
	v_fma_f64 v[28:29], -v[26:27], v[40:41], 1.0
	v_fma_f64 v[30:31], -v[38:39], v[42:43], 1.0
	s_delay_alu instid0(VALU_DEP_2) | instskip(NEXT) | instid1(VALU_DEP_2)
	v_fmac_f64_e32 v[40:41], v[40:41], v[28:29]
	v_fmac_f64_e32 v[42:43], v[42:43], v[30:31]
	s_delay_alu instid0(VALU_DEP_2) | instskip(NEXT) | instid1(VALU_DEP_2)
	v_mul_f64_e32 v[46:47], v[32:33], v[40:41]
	v_mul_f64_e32 v[48:49], v[44:45], v[42:43]
	s_delay_alu instid0(VALU_DEP_2)
	v_fma_f64 v[50:51], -v[26:27], v[46:47], v[32:33]
	ds_load_b128 v[26:29], v23
	ds_load_b128 v[30:33], v21
	v_fma_f64 v[38:39], -v[38:39], v[48:49], v[44:45]
	s_wait_dscnt 0x1
	v_mul_f64_e64 v[44:45], v[4:5], -v[26:27]
	v_div_fmas_f64 v[40:41], v[50:51], v[40:41], v[46:47]
	s_mov_b32 vcc_lo, s2
	s_wait_dscnt 0x0
	v_mul_f64_e64 v[46:47], v[12:13], -v[30:31]
	s_delay_alu instid0(VALU_DEP_4)
	v_div_fmas_f64 v[38:39], v[38:39], v[42:43], v[48:49]
	v_mul_f64_e32 v[42:43], v[4:5], v[28:29]
	v_fmac_f64_e32 v[44:45], v[28:29], v[2:3]
	v_div_fixup_f64 v[34:35], v[40:41], v[34:35], 1.0
	v_mul_f64_e32 v[40:41], v[12:13], v[32:33]
	v_fmac_f64_e32 v[46:47], v[32:33], v[10:11]
	v_div_fixup_f64 v[36:37], v[38:39], v[36:37], 1.0
	v_fmac_f64_e32 v[42:43], v[26:27], v[2:3]
	ds_load_b128 v[2:5], v25 offset:22528
	ds_load_b128 v[26:29], v25 offset:24576
	v_mul_f64_e32 v[38:39], v[34:35], v[44:45]
	v_fmac_f64_e32 v[40:41], v[30:31], v[10:11]
	ds_load_b128 v[10:13], v52 offset:24704
	ds_load_b128 v[30:33], v52 offset:22656
	v_mul_f64_e32 v[44:45], v[36:37], v[46:47]
	v_mul_f64_e32 v[34:35], v[34:35], v[42:43]
	s_wait_dscnt 0x3
	v_mul_f64_e64 v[42:43], v[38:39], -v[4:5]
	v_mul_f64_e32 v[46:47], v[38:39], v[2:3]
	s_wait_dscnt 0x2
	v_mul_f64_e64 v[48:49], v[38:39], -v[28:29]
	v_mul_f64_e32 v[50:51], v[38:39], v[26:27]
	v_mul_f64_e32 v[36:37], v[36:37], v[40:41]
	v_mul_f64_e64 v[40:41], v[44:45], -v[16:17]
	v_mul_f64_e32 v[52:53], v[44:45], v[14:15]
	s_wait_dscnt 0x1
	v_mul_f64_e64 v[54:55], v[44:45], -v[12:13]
	v_mul_f64_e32 v[56:57], v[44:45], v[10:11]
	v_mul_f64_e32 v[58:59], v[38:39], v[8:9]
	v_mul_f64_e64 v[38:39], v[38:39], -v[6:7]
	s_wait_dscnt 0x0
	v_mul_f64_e32 v[60:61], v[44:45], v[32:33]
	v_fmac_f64_e32 v[42:43], v[2:3], v[34:35]
	v_fmac_f64_e32 v[46:47], v[4:5], v[34:35]
	;; [unrolled: 1-line block ×4, first 2 shown]
	ds_load_b128 v[2:5], v24
	ds_load_b128 v[26:29], v19
	v_fmac_f64_e32 v[40:41], v[14:15], v[36:37]
	v_fmac_f64_e32 v[52:53], v[16:17], v[36:37]
	;; [unrolled: 1-line block ×4, first 2 shown]
	s_wait_dscnt 0x1
	v_add_f64_e64 v[10:11], v[2:3], -v[42:43]
	v_add_f64_e64 v[12:13], v[4:5], -v[46:47]
	s_wait_dscnt 0x0
	v_add_f64_e64 v[14:15], v[26:27], -v[48:49]
	v_add_f64_e64 v[16:17], v[28:29], -v[50:51]
	v_mul_f64_e64 v[26:27], v[44:45], -v[30:31]
	v_fma_f64 v[2:3], -v[6:7], v[34:35], v[58:59]
	v_fma_f64 v[4:5], -v[8:9], v[34:35], v[38:39]
	;; [unrolled: 1-line block ×3, first 2 shown]
	v_add_f64_e64 v[10:11], v[10:11], -v[40:41]
	v_add_f64_e64 v[12:13], v[12:13], -v[52:53]
	;; [unrolled: 1-line block ×4, first 2 shown]
	v_fma_f64 v[8:9], -v[32:33], v[36:37], v[26:27]
.LBB70_20:
	s_or_b32 exec_lo, exec_lo, s3
	s_barrier_signal -1
	s_barrier_wait -1
	s_and_saveexec_b32 s2, s1
	s_cbranch_execz .LBB70_22
; %bb.21:
	ds_store_b128 v24, v[10:13]
	ds_store_b128 v19, v[14:17]
	ds_store_b128 v23, v[2:5]
	ds_store_b128 v21, v[6:9]
.LBB70_22:
	s_or_b32 exec_lo, exec_lo, s2
	s_wait_dscnt 0x0
	s_barrier_signal -1
	s_barrier_wait -1
	s_and_saveexec_b32 s3, s1
	s_cbranch_execz .LBB70_24
; %bb.23:
	v_sub_nc_u32_e64 v2, v0, 16 clamp
	v_min_u32_e32 v10, 47, v0
	s_delay_alu instid0(VALU_DEP_2) | instskip(NEXT) | instid1(VALU_DEP_2)
	v_lshlrev_b32_e32 v25, 4, v2
	v_lshlrev_b32_e32 v52, 4, v10
	ds_load_b128 v[2:5], v25 offset:21504
	ds_load_b128 v[6:9], v25 offset:20480
	ds_load_b128 v[10:13], v52 offset:21760
	ds_load_b128 v[14:17], v52 offset:20736
	s_wait_dscnt 0x3
	v_mul_f64_e32 v[34:35], v[4:5], v[4:5]
	s_wait_dscnt 0x1
	v_mul_f64_e32 v[36:37], v[12:13], v[12:13]
	s_delay_alu instid0(VALU_DEP_2) | instskip(NEXT) | instid1(VALU_DEP_2)
	v_fmac_f64_e32 v[34:35], v[2:3], v[2:3]
	v_fmac_f64_e32 v[36:37], v[10:11], v[10:11]
	s_delay_alu instid0(VALU_DEP_2) | instskip(NEXT) | instid1(VALU_DEP_2)
	v_div_scale_f64 v[26:27], null, v[34:35], v[34:35], 1.0
	v_div_scale_f64 v[38:39], null, v[36:37], v[36:37], 1.0
	v_div_scale_f64 v[32:33], vcc_lo, 1.0, v[34:35], 1.0
	v_div_scale_f64 v[44:45], s2, 1.0, v[36:37], 1.0
	s_delay_alu instid0(VALU_DEP_4) | instskip(NEXT) | instid1(VALU_DEP_3)
	v_rcp_f64_e32 v[40:41], v[26:27]
	v_rcp_f64_e32 v[42:43], v[38:39]
	s_delay_alu instid0(TRANS32_DEP_2) | instskip(NEXT) | instid1(TRANS32_DEP_1)
	v_fma_f64 v[28:29], -v[26:27], v[40:41], 1.0
	v_fma_f64 v[30:31], -v[38:39], v[42:43], 1.0
	s_delay_alu instid0(VALU_DEP_2) | instskip(NEXT) | instid1(VALU_DEP_2)
	v_fmac_f64_e32 v[40:41], v[40:41], v[28:29]
	v_fmac_f64_e32 v[42:43], v[42:43], v[30:31]
	s_delay_alu instid0(VALU_DEP_2) | instskip(NEXT) | instid1(VALU_DEP_2)
	v_fma_f64 v[28:29], -v[26:27], v[40:41], 1.0
	v_fma_f64 v[30:31], -v[38:39], v[42:43], 1.0
	s_delay_alu instid0(VALU_DEP_2) | instskip(NEXT) | instid1(VALU_DEP_2)
	v_fmac_f64_e32 v[40:41], v[40:41], v[28:29]
	v_fmac_f64_e32 v[42:43], v[42:43], v[30:31]
	s_delay_alu instid0(VALU_DEP_2) | instskip(NEXT) | instid1(VALU_DEP_2)
	v_mul_f64_e32 v[46:47], v[32:33], v[40:41]
	v_mul_f64_e32 v[48:49], v[44:45], v[42:43]
	s_delay_alu instid0(VALU_DEP_2)
	v_fma_f64 v[50:51], -v[26:27], v[46:47], v[32:33]
	ds_load_b128 v[26:29], v23
	ds_load_b128 v[30:33], v21
	v_fma_f64 v[38:39], -v[38:39], v[48:49], v[44:45]
	s_wait_dscnt 0x1
	v_mul_f64_e64 v[44:45], v[4:5], -v[26:27]
	v_div_fmas_f64 v[40:41], v[50:51], v[40:41], v[46:47]
	s_mov_b32 vcc_lo, s2
	s_wait_dscnt 0x0
	v_mul_f64_e64 v[46:47], v[12:13], -v[30:31]
	s_delay_alu instid0(VALU_DEP_4)
	v_div_fmas_f64 v[38:39], v[38:39], v[42:43], v[48:49]
	v_mul_f64_e32 v[42:43], v[4:5], v[28:29]
	v_fmac_f64_e32 v[44:45], v[28:29], v[2:3]
	v_div_fixup_f64 v[34:35], v[40:41], v[34:35], 1.0
	v_mul_f64_e32 v[40:41], v[12:13], v[32:33]
	v_fmac_f64_e32 v[46:47], v[32:33], v[10:11]
	v_div_fixup_f64 v[36:37], v[38:39], v[36:37], 1.0
	v_fmac_f64_e32 v[42:43], v[26:27], v[2:3]
	ds_load_b128 v[2:5], v25 offset:22528
	ds_load_b128 v[26:29], v25 offset:24576
	v_mul_f64_e32 v[38:39], v[34:35], v[44:45]
	v_fmac_f64_e32 v[40:41], v[30:31], v[10:11]
	ds_load_b128 v[10:13], v52 offset:24832
	ds_load_b128 v[30:33], v52 offset:22784
	v_mul_f64_e32 v[44:45], v[36:37], v[46:47]
	v_mul_f64_e32 v[34:35], v[34:35], v[42:43]
	s_wait_dscnt 0x3
	v_mul_f64_e64 v[42:43], v[38:39], -v[4:5]
	v_mul_f64_e32 v[46:47], v[38:39], v[2:3]
	s_wait_dscnt 0x2
	v_mul_f64_e64 v[48:49], v[38:39], -v[28:29]
	v_mul_f64_e32 v[50:51], v[38:39], v[26:27]
	v_mul_f64_e32 v[36:37], v[36:37], v[40:41]
	v_mul_f64_e64 v[40:41], v[44:45], -v[16:17]
	v_mul_f64_e32 v[52:53], v[44:45], v[14:15]
	s_wait_dscnt 0x1
	v_mul_f64_e64 v[54:55], v[44:45], -v[12:13]
	v_mul_f64_e32 v[56:57], v[44:45], v[10:11]
	v_mul_f64_e32 v[58:59], v[38:39], v[8:9]
	v_mul_f64_e64 v[38:39], v[38:39], -v[6:7]
	s_wait_dscnt 0x0
	v_mul_f64_e32 v[60:61], v[44:45], v[32:33]
	v_fmac_f64_e32 v[42:43], v[2:3], v[34:35]
	v_fmac_f64_e32 v[46:47], v[4:5], v[34:35]
	;; [unrolled: 1-line block ×4, first 2 shown]
	ds_load_b128 v[2:5], v24
	ds_load_b128 v[26:29], v19
	v_fmac_f64_e32 v[40:41], v[14:15], v[36:37]
	v_fmac_f64_e32 v[52:53], v[16:17], v[36:37]
	;; [unrolled: 1-line block ×4, first 2 shown]
	s_wait_dscnt 0x1
	v_add_f64_e64 v[10:11], v[2:3], -v[42:43]
	v_add_f64_e64 v[12:13], v[4:5], -v[46:47]
	s_wait_dscnt 0x0
	v_add_f64_e64 v[14:15], v[26:27], -v[48:49]
	v_add_f64_e64 v[16:17], v[28:29], -v[50:51]
	v_mul_f64_e64 v[26:27], v[44:45], -v[30:31]
	v_fma_f64 v[2:3], -v[6:7], v[34:35], v[58:59]
	v_fma_f64 v[4:5], -v[8:9], v[34:35], v[38:39]
	;; [unrolled: 1-line block ×3, first 2 shown]
	v_add_f64_e64 v[10:11], v[10:11], -v[40:41]
	v_add_f64_e64 v[12:13], v[12:13], -v[52:53]
	;; [unrolled: 1-line block ×4, first 2 shown]
	v_fma_f64 v[8:9], -v[32:33], v[36:37], v[26:27]
.LBB70_24:
	s_or_b32 exec_lo, exec_lo, s3
	s_barrier_signal -1
	s_barrier_wait -1
	s_and_saveexec_b32 s2, s1
	s_cbranch_execz .LBB70_26
; %bb.25:
	ds_store_b128 v24, v[10:13]
	ds_store_b128 v19, v[14:17]
	;; [unrolled: 1-line block ×4, first 2 shown]
.LBB70_26:
	s_or_b32 exec_lo, exec_lo, s2
	s_delay_alu instid0(SALU_CYCLE_1)
	s_mov_b32 s2, exec_lo
	s_wait_dscnt 0x0
	s_barrier_signal -1
	s_barrier_wait -1
	v_cmpx_gt_u32_e32 32, v0
	s_cbranch_execz .LBB70_28
; %bb.27:
	ds_load_b128 v[2:5], v24
	ds_load_b128 v[6:9], v24 offset:512
	ds_load_b128 v[10:13], v23 offset:512
	ds_load_b128 v[14:17], v21
	s_wait_dscnt 0x2
	v_mul_f64_e32 v[24:25], v[4:5], v[6:7]
	v_mul_f64_e64 v[28:29], v[4:5], -v[8:9]
	s_wait_dscnt 0x0
	v_mul_f64_e32 v[26:27], v[12:13], v[14:15]
	v_mul_f64_e64 v[30:31], v[12:13], -v[16:17]
	s_delay_alu instid0(VALU_DEP_4) | instskip(NEXT) | instid1(VALU_DEP_4)
	v_fmac_f64_e32 v[24:25], v[8:9], v[2:3]
	v_fmac_f64_e32 v[28:29], v[6:7], v[2:3]
	s_delay_alu instid0(VALU_DEP_4) | instskip(NEXT) | instid1(VALU_DEP_4)
	v_fmac_f64_e32 v[26:27], v[16:17], v[10:11]
	v_fmac_f64_e32 v[30:31], v[14:15], v[10:11]
	s_delay_alu instid0(VALU_DEP_2) | instskip(NEXT) | instid1(VALU_DEP_2)
	v_add_f64_e64 v[32:33], v[24:25], -v[26:27]
	v_add_f64_e64 v[34:35], v[28:29], -v[30:31]
	s_delay_alu instid0(VALU_DEP_2) | instskip(NEXT) | instid1(VALU_DEP_1)
	v_mul_f64_e32 v[36:37], v[32:33], v[32:33]
	v_fmac_f64_e32 v[36:37], v[34:35], v[34:35]
	s_delay_alu instid0(VALU_DEP_1) | instskip(SKIP_1) | instid1(VALU_DEP_2)
	v_div_scale_f64 v[24:25], null, v[36:37], v[36:37], 1.0
	v_div_scale_f64 v[28:29], vcc_lo, 1.0, v[36:37], 1.0
	v_rcp_f64_e32 v[38:39], v[24:25]
	v_nop
	s_delay_alu instid0(TRANS32_DEP_1) | instskip(NEXT) | instid1(VALU_DEP_1)
	v_fma_f64 v[26:27], -v[24:25], v[38:39], 1.0
	v_fmac_f64_e32 v[38:39], v[38:39], v[26:27]
	s_delay_alu instid0(VALU_DEP_1) | instskip(NEXT) | instid1(VALU_DEP_1)
	v_fma_f64 v[26:27], -v[24:25], v[38:39], 1.0
	v_fmac_f64_e32 v[38:39], v[38:39], v[26:27]
	s_delay_alu instid0(VALU_DEP_1) | instskip(NEXT) | instid1(VALU_DEP_1)
	v_mul_f64_e32 v[40:41], v[28:29], v[38:39]
	v_fma_f64 v[42:43], -v[24:25], v[40:41], v[28:29]
	ds_load_b128 v[24:27], v19
	ds_load_b128 v[28:31], v19 offset:512
	s_wait_dscnt 0x1
	v_mul_f64_e64 v[44:45], v[26:27], -v[8:9]
	v_mul_f64_e32 v[46:47], v[6:7], v[26:27]
	s_wait_dscnt 0x0
	v_mul_f64_e64 v[48:49], v[30:31], -v[16:17]
	v_mul_f64_e32 v[50:51], v[14:15], v[30:31]
	v_mul_f64_e64 v[52:53], v[4:5], -v[30:31]
	v_mul_f64_e32 v[4:5], v[4:5], v[28:29]
	v_div_fmas_f64 v[38:39], v[42:43], v[38:39], v[40:41]
	v_mul_f64_e32 v[40:41], v[12:13], v[24:25]
	v_mul_f64_e64 v[12:13], v[12:13], -v[26:27]
	v_fmac_f64_e32 v[44:45], v[6:7], v[24:25]
	v_fmac_f64_e32 v[46:47], v[8:9], v[24:25]
	;; [unrolled: 1-line block ×4, first 2 shown]
	v_fma_f64 v[6:7], v[34:35], 0, -v[32:33]
	v_fmac_f64_e32 v[52:53], v[28:29], v[2:3]
	v_fmac_f64_e32 v[4:5], v[30:31], v[2:3]
	v_fma_f64 v[2:3], 0, v[32:33], v[34:35]
	v_div_fixup_f64 v[8:9], v[38:39], v[36:37], 1.0
	v_fmac_f64_e32 v[40:41], v[26:27], v[10:11]
	v_fmac_f64_e32 v[12:13], v[24:25], v[10:11]
	v_add_f64_e64 v[16:17], v[44:45], -v[48:49]
	v_add_f64_e64 v[10:11], v[46:47], -v[50:51]
	v_mul_f64_e32 v[14:15], v[6:7], v[8:9]
	v_add_f64_e64 v[24:25], v[4:5], -v[40:41]
	v_add_f64_e64 v[12:13], v[52:53], -v[12:13]
	v_mul_f64_e32 v[26:27], v[2:3], v[8:9]
	s_delay_alu instid0(VALU_DEP_4) | instskip(SKIP_3) | instid1(VALU_DEP_4)
	v_mul_f64_e64 v[2:3], v[14:15], -v[10:11]
	v_mul_f64_e32 v[4:5], v[14:15], v[16:17]
	v_mul_f64_e64 v[6:7], v[14:15], -v[24:25]
	v_mul_f64_e32 v[8:9], v[14:15], v[12:13]
	v_fmac_f64_e32 v[2:3], v[16:17], v[26:27]
	s_delay_alu instid0(VALU_DEP_4) | instskip(NEXT) | instid1(VALU_DEP_4)
	v_fmac_f64_e32 v[4:5], v[10:11], v[26:27]
	v_fmac_f64_e32 v[6:7], v[12:13], v[26:27]
	s_delay_alu instid0(VALU_DEP_4)
	v_fmac_f64_e32 v[8:9], v[24:25], v[26:27]
	ds_store_b128 v22, v[2:5] offset:23552
	ds_store_b128 v22, v[6:9] offset:24064
.LBB70_28:
	s_or_b32 exec_lo, exec_lo, s2
	v_dual_ashrrev_i32 v19, 31, v18 :: v_dual_mov_b32 v21, 0
	s_wait_dscnt 0x0
	s_barrier_signal -1
	s_barrier_wait -1
	s_and_saveexec_b32 s2, s1
	s_cbranch_execz .LBB70_30
; %bb.29:
	ds_load_b128 v[2:5], v22 offset:23552
	s_wait_dscnt 0x0
	ds_store_b128 v1, v[2:5] offset:12272
.LBB70_30:
	s_or_b32 exec_lo, exec_lo, s2
	s_wait_dscnt 0x0
	s_barrier_signal -1
	s_barrier_wait -1
	s_and_saveexec_b32 s2, s1
	s_cbranch_execz .LBB70_36
; %bb.31:
	v_lshlrev_b32_e32 v1, 2, v0
	v_lshl_or_b32 v6, v0, 6, 0x4000
	s_mov_b32 s1, exec_lo
                                        ; implicit-def: $vgpr4_vgpr5
	s_delay_alu instid0(VALU_DEP_2)
	v_lshlrev_b32_e32 v1, 4, v1
	v_cmpx_ne_u32_e32 0, v0
	s_xor_b32 s1, exec_lo, s1
	s_cbranch_execz .LBB70_33
; %bb.32:
	ds_load_b128 v[2:5], v1 offset:4112
	s_wait_dscnt 0x0
	v_mul_f64_e32 v[28:29], v[4:5], v[4:5]
	s_delay_alu instid0(VALU_DEP_1) | instskip(NEXT) | instid1(VALU_DEP_1)
	v_fmac_f64_e32 v[28:29], v[2:3], v[2:3]
	v_div_scale_f64 v[30:31], null, v[28:29], v[28:29], 1.0
	s_delay_alu instid0(VALU_DEP_1) | instskip(SKIP_1) | instid1(TRANS32_DEP_1)
	v_rcp_f64_e32 v[32:33], v[30:31]
	v_nop
	v_fma_f64 v[8:9], -v[30:31], v[32:33], 1.0
	s_delay_alu instid0(VALU_DEP_1)
	v_fmac_f64_e32 v[32:33], v[32:33], v[8:9]
	ds_load_b128 v[8:11], v1 offset:16
	ds_load_b128 v[12:15], v1 offset:12272
	;; [unrolled: 1-line block ×3, first 2 shown]
	s_wait_dscnt 0x1
	v_mul_f64_e32 v[34:35], v[14:15], v[8:9]
	v_mul_f64_e64 v[38:39], v[14:15], -v[10:11]
	ds_load_b128 v[14:17], v1 offset:12336
	v_fma_f64 v[36:37], -v[30:31], v[32:33], 1.0
	v_fmac_f64_e32 v[34:35], v[10:11], v[12:13]
	v_div_scale_f64 v[10:11], vcc_lo, 1.0, v[28:29], 1.0
	v_fmac_f64_e32 v[38:39], v[8:9], v[12:13]
	ds_load_b128 v[6:9], v6 offset:16
	s_wait_dscnt 0x1
	v_mul_f64_e64 v[40:41], v[16:17], -v[26:27]
	v_mul_f64_e32 v[16:17], v[16:17], v[24:25]
	v_fmac_f64_e32 v[32:33], v[32:33], v[36:37]
	s_wait_dscnt 0x0
	v_add_f64_e64 v[8:9], v[8:9], -v[34:35]
	v_add_f64_e64 v[6:7], v[6:7], -v[38:39]
	v_fmac_f64_e32 v[40:41], v[24:25], v[14:15]
	v_fmac_f64_e32 v[16:17], v[26:27], v[14:15]
	v_mul_f64_e32 v[12:13], v[10:11], v[32:33]
	s_delay_alu instid0(VALU_DEP_3) | instskip(NEXT) | instid1(VALU_DEP_3)
	v_add_f64_e64 v[6:7], v[6:7], -v[40:41]
	v_add_f64_e64 v[8:9], v[8:9], -v[16:17]
	s_delay_alu instid0(VALU_DEP_3) | instskip(NEXT) | instid1(VALU_DEP_2)
	v_fma_f64 v[10:11], -v[30:31], v[12:13], v[10:11]
	v_mul_f64_e32 v[14:15], v[4:5], v[8:9]
	s_delay_alu instid0(VALU_DEP_4) | instskip(NEXT) | instid1(VALU_DEP_3)
	v_mul_f64_e64 v[4:5], v[4:5], -v[6:7]
	v_div_fmas_f64 v[10:11], v[10:11], v[32:33], v[12:13]
	s_delay_alu instid0(VALU_DEP_3) | instskip(NEXT) | instid1(VALU_DEP_3)
	v_fmac_f64_e32 v[14:15], v[6:7], v[2:3]
	v_fmac_f64_e32 v[4:5], v[8:9], v[2:3]
	s_delay_alu instid0(VALU_DEP_3) | instskip(NEXT) | instid1(VALU_DEP_1)
	v_div_fixup_f64 v[6:7], v[10:11], v[28:29], 1.0
	v_mul_f64_e32 v[2:3], v[14:15], v[6:7]
	s_delay_alu instid0(VALU_DEP_3)
	v_mul_f64_e32 v[4:5], v[6:7], v[4:5]
                                        ; implicit-def: $vgpr6
.LBB70_33:
	s_and_not1_saveexec_b32 s1, s1
	s_cbranch_execz .LBB70_35
; %bb.34:
	ds_load_b128 v[2:5], v1 offset:4112
	s_wait_dscnt 0x0
	v_mul_f64_e32 v[16:17], v[4:5], v[4:5]
	s_delay_alu instid0(VALU_DEP_1) | instskip(NEXT) | instid1(VALU_DEP_1)
	v_fmac_f64_e32 v[16:17], v[2:3], v[2:3]
	v_div_scale_f64 v[28:29], null, v[16:17], v[16:17], 1.0
	v_div_scale_f64 v[34:35], vcc_lo, 1.0, v[16:17], 1.0
	s_delay_alu instid0(VALU_DEP_2) | instskip(SKIP_1) | instid1(TRANS32_DEP_1)
	v_rcp_f64_e32 v[30:31], v[28:29]
	v_nop
	v_fma_f64 v[8:9], -v[28:29], v[30:31], 1.0
	s_delay_alu instid0(VALU_DEP_1)
	v_fmac_f64_e32 v[30:31], v[30:31], v[8:9]
	ds_load_b128 v[8:11], v1 offset:8208
	ds_load_b128 v[12:15], v1 offset:12336
	;; [unrolled: 1-line block ×3, first 2 shown]
	s_wait_dscnt 0x1
	v_mul_f64_e32 v[6:7], v[14:15], v[8:9]
	v_mul_f64_e64 v[14:15], v[14:15], -v[10:11]
	v_fma_f64 v[32:33], -v[28:29], v[30:31], 1.0
	s_delay_alu instid0(VALU_DEP_3) | instskip(NEXT) | instid1(VALU_DEP_3)
	v_fmac_f64_e32 v[6:7], v[10:11], v[12:13]
	v_fmac_f64_e32 v[14:15], v[8:9], v[12:13]
	s_delay_alu instid0(VALU_DEP_3) | instskip(SKIP_1) | instid1(VALU_DEP_3)
	v_fmac_f64_e32 v[30:31], v[30:31], v[32:33]
	s_wait_dscnt 0x0
	v_add_f64_e64 v[6:7], v[26:27], -v[6:7]
	s_delay_alu instid0(VALU_DEP_3) | instskip(NEXT) | instid1(VALU_DEP_3)
	v_add_f64_e64 v[12:13], v[24:25], -v[14:15]
	v_mul_f64_e32 v[10:11], v[34:35], v[30:31]
	s_delay_alu instid0(VALU_DEP_3) | instskip(NEXT) | instid1(VALU_DEP_3)
	v_mul_f64_e32 v[14:15], v[6:7], v[4:5]
	v_mul_f64_e64 v[4:5], v[4:5], -v[12:13]
	s_delay_alu instid0(VALU_DEP_3) | instskip(NEXT) | instid1(VALU_DEP_3)
	v_fma_f64 v[8:9], -v[28:29], v[10:11], v[34:35]
	v_fmac_f64_e32 v[14:15], v[12:13], v[2:3]
	s_delay_alu instid0(VALU_DEP_3) | instskip(NEXT) | instid1(VALU_DEP_3)
	v_fmac_f64_e32 v[4:5], v[6:7], v[2:3]
	v_div_fmas_f64 v[8:9], v[8:9], v[30:31], v[10:11]
	s_delay_alu instid0(VALU_DEP_1) | instskip(NEXT) | instid1(VALU_DEP_1)
	v_div_fixup_f64 v[8:9], v[8:9], v[16:17], 1.0
	v_mul_f64_e32 v[2:3], v[14:15], v[8:9]
	s_delay_alu instid0(VALU_DEP_4)
	v_mul_f64_e32 v[4:5], v[4:5], v[8:9]
.LBB70_35:
	s_or_b32 exec_lo, exec_lo, s1
	ds_store_b128 v1, v[2:5] offset:12304
.LBB70_36:
	s_or_b32 exec_lo, exec_lo, s2
	v_lshl_add_u64 v[4:5], v[18:19], 4, s[10:11]
	v_lshl_add_u64 v[6:7], v[20:21], 4, s[10:11]
	s_wait_dscnt 0x0
	s_barrier_signal -1
	s_barrier_wait -1
	s_and_saveexec_b32 s1, s0
	s_cbranch_execz .LBB70_42
; %bb.37:
	v_lshlrev_b32_e32 v1, 1, v0
	v_cmp_ne_u32_e32 vcc_lo, 0, v0
	v_lshl_or_b32 v9, v0, 5, 0x4000
	s_delay_alu instid0(VALU_DEP_3) | instskip(SKIP_1) | instid1(SALU_CYCLE_1)
	v_lshlrev_b32_e32 v8, 4, v1
                                        ; implicit-def: $vgpr2_vgpr3
	s_and_saveexec_b32 s0, vcc_lo
	s_xor_b32 s0, exec_lo, s0
	s_cbranch_execz .LBB70_39
; %bb.38:
	ds_load_b128 v[0:3], v8 offset:4096
	s_wait_dscnt 0x0
	v_mul_f64_e32 v[28:29], v[2:3], v[2:3]
	s_delay_alu instid0(VALU_DEP_1) | instskip(NEXT) | instid1(VALU_DEP_1)
	v_fmac_f64_e32 v[28:29], v[0:1], v[0:1]
	v_div_scale_f64 v[30:31], null, v[28:29], v[28:29], 1.0
	v_div_scale_f64 v[40:41], vcc_lo, 1.0, v[28:29], 1.0
	s_delay_alu instid0(VALU_DEP_2) | instskip(SKIP_1) | instid1(TRANS32_DEP_1)
	v_rcp_f64_e32 v[32:33], v[30:31]
	v_nop
	v_fma_f64 v[10:11], -v[30:31], v[32:33], 1.0
	s_delay_alu instid0(VALU_DEP_1)
	v_fmac_f64_e32 v[32:33], v[32:33], v[10:11]
	ds_load_b128 v[10:13], v8
	ds_load_b128 v[14:17], v8 offset:12272
	ds_load_b128 v[18:21], v8 offset:8192
	;; [unrolled: 1-line block ×3, first 2 shown]
	s_wait_dscnt 0x2
	v_mul_f64_e32 v[34:35], v[16:17], v[10:11]
	v_mul_f64_e64 v[16:17], v[16:17], -v[12:13]
	v_fma_f64 v[36:37], -v[30:31], v[32:33], 1.0
	s_delay_alu instid0(VALU_DEP_3) | instskip(NEXT) | instid1(VALU_DEP_3)
	v_fmac_f64_e32 v[34:35], v[12:13], v[14:15]
	v_fmac_f64_e32 v[16:17], v[10:11], v[14:15]
	ds_load_b128 v[10:13], v9
	s_wait_dscnt 0x1
	v_mul_f64_e64 v[38:39], v[26:27], -v[20:21]
	v_mul_f64_e32 v[26:27], v[26:27], v[18:19]
                                        ; implicit-def: $vgpr9
	v_fmac_f64_e32 v[32:33], v[32:33], v[36:37]
	s_wait_dscnt 0x0
	v_add_f64_e64 v[12:13], v[12:13], -v[34:35]
	v_add_f64_e64 v[10:11], v[10:11], -v[16:17]
	v_fmac_f64_e32 v[38:39], v[18:19], v[24:25]
	v_fmac_f64_e32 v[26:27], v[20:21], v[24:25]
	v_mul_f64_e32 v[14:15], v[40:41], v[32:33]
	s_delay_alu instid0(VALU_DEP_3) | instskip(NEXT) | instid1(VALU_DEP_3)
	v_add_f64_e64 v[10:11], v[10:11], -v[38:39]
	v_add_f64_e64 v[12:13], v[12:13], -v[26:27]
	s_delay_alu instid0(VALU_DEP_3) | instskip(NEXT) | instid1(VALU_DEP_2)
	v_fma_f64 v[16:17], -v[30:31], v[14:15], v[40:41]
	v_mul_f64_e32 v[18:19], v[2:3], v[12:13]
	s_delay_alu instid0(VALU_DEP_4) | instskip(NEXT) | instid1(VALU_DEP_3)
	v_mul_f64_e64 v[2:3], v[2:3], -v[10:11]
	v_div_fmas_f64 v[14:15], v[16:17], v[32:33], v[14:15]
	s_delay_alu instid0(VALU_DEP_3) | instskip(NEXT) | instid1(VALU_DEP_3)
	v_fmac_f64_e32 v[18:19], v[10:11], v[0:1]
	v_fmac_f64_e32 v[2:3], v[12:13], v[0:1]
	s_delay_alu instid0(VALU_DEP_3) | instskip(NEXT) | instid1(VALU_DEP_1)
	v_div_fixup_f64 v[10:11], v[14:15], v[28:29], 1.0
	v_mul_f64_e32 v[0:1], v[18:19], v[10:11]
	s_delay_alu instid0(VALU_DEP_3)
	v_mul_f64_e32 v[2:3], v[10:11], v[2:3]
.LBB70_39:
	s_and_not1_saveexec_b32 s0, s0
	s_cbranch_execz .LBB70_41
; %bb.40:
	ds_load_b128 v[0:3], v8 offset:4096
	s_wait_dscnt 0x0
	v_mul_f64_e32 v[24:25], v[2:3], v[2:3]
	s_delay_alu instid0(VALU_DEP_1) | instskip(NEXT) | instid1(VALU_DEP_1)
	v_fmac_f64_e32 v[24:25], v[0:1], v[0:1]
	v_div_scale_f64 v[26:27], null, v[24:25], v[24:25], 1.0
	v_div_scale_f64 v[34:35], vcc_lo, 1.0, v[24:25], 1.0
	s_delay_alu instid0(VALU_DEP_2) | instskip(SKIP_1) | instid1(TRANS32_DEP_1)
	v_rcp_f64_e32 v[28:29], v[26:27]
	v_nop
	v_fma_f64 v[10:11], -v[26:27], v[28:29], 1.0
	s_delay_alu instid0(VALU_DEP_1)
	v_fmac_f64_e32 v[28:29], v[28:29], v[10:11]
	ds_load_b128 v[10:13], v8 offset:8192
	ds_load_b128 v[14:17], v8 offset:12304
	ds_load_b128 v[18:21], v9
	s_wait_dscnt 0x1
	v_mul_f64_e32 v[32:33], v[16:17], v[10:11]
	v_mul_f64_e64 v[16:17], v[16:17], -v[12:13]
	v_fma_f64 v[30:31], -v[26:27], v[28:29], 1.0
	s_delay_alu instid0(VALU_DEP_3) | instskip(NEXT) | instid1(VALU_DEP_3)
	v_fmac_f64_e32 v[32:33], v[12:13], v[14:15]
	v_fmac_f64_e32 v[16:17], v[10:11], v[14:15]
	s_delay_alu instid0(VALU_DEP_3) | instskip(SKIP_1) | instid1(VALU_DEP_3)
	v_fmac_f64_e32 v[28:29], v[28:29], v[30:31]
	s_wait_dscnt 0x0
	v_add_f64_e64 v[10:11], v[20:21], -v[32:33]
	s_delay_alu instid0(VALU_DEP_3) | instskip(NEXT) | instid1(VALU_DEP_3)
	v_add_f64_e64 v[16:17], v[18:19], -v[16:17]
	v_mul_f64_e32 v[12:13], v[34:35], v[28:29]
	s_delay_alu instid0(VALU_DEP_3) | instskip(NEXT) | instid1(VALU_DEP_3)
	v_mul_f64_e32 v[18:19], v[10:11], v[2:3]
	v_mul_f64_e64 v[2:3], v[2:3], -v[16:17]
	s_delay_alu instid0(VALU_DEP_3) | instskip(NEXT) | instid1(VALU_DEP_3)
	v_fma_f64 v[14:15], -v[26:27], v[12:13], v[34:35]
	v_fmac_f64_e32 v[18:19], v[16:17], v[0:1]
	s_delay_alu instid0(VALU_DEP_3) | instskip(NEXT) | instid1(VALU_DEP_3)
	v_fmac_f64_e32 v[2:3], v[10:11], v[0:1]
	v_div_fmas_f64 v[12:13], v[14:15], v[28:29], v[12:13]
	s_delay_alu instid0(VALU_DEP_1) | instskip(NEXT) | instid1(VALU_DEP_1)
	v_div_fixup_f64 v[12:13], v[12:13], v[24:25], 1.0
	v_mul_f64_e32 v[0:1], v[18:19], v[12:13]
	s_delay_alu instid0(VALU_DEP_4)
	v_mul_f64_e32 v[2:3], v[2:3], v[12:13]
.LBB70_41:
	s_or_b32 exec_lo, exec_lo, s0
	ds_store_b128 v8, v[0:3] offset:12288
.LBB70_42:
	s_or_b32 exec_lo, exec_lo, s1
	v_or_b32_e32 v0, 0x3000, v22
	v_or_b32_e32 v8, 0x3800, v22
	s_wait_dscnt 0x0
	s_barrier_signal -1
	s_barrier_wait -1
	ds_load_2addr_b64 v[0:3], v0 offset1:1
	ds_load_2addr_b64 v[8:11], v8 offset1:1
	s_wait_dscnt 0x1
	global_store_b128 v[4:5], v[0:3], off
	s_wait_dscnt 0x0
	global_store_b128 v[6:7], v[8:11], off
	s_sendmsg sendmsg(MSG_DEALLOC_VGPRS)
	s_endpgm
	.section	.rodata,"a",@progbits
	.p2align	6, 0x0
	.amdhsa_kernel _ZN9rocsparseL51gtsv_nopivot_strided_batch_crpcr_pow2_shared_kernelILj128ELj64E21rocsparse_complex_numIdEEEviiiPKT1_S5_S5_PS3_
		.amdhsa_group_segment_fixed_size 25600
		.amdhsa_private_segment_fixed_size 0
		.amdhsa_kernarg_size 48
		.amdhsa_user_sgpr_count 2
		.amdhsa_user_sgpr_dispatch_ptr 0
		.amdhsa_user_sgpr_queue_ptr 0
		.amdhsa_user_sgpr_kernarg_segment_ptr 1
		.amdhsa_user_sgpr_dispatch_id 0
		.amdhsa_user_sgpr_kernarg_preload_length 0
		.amdhsa_user_sgpr_kernarg_preload_offset 0
		.amdhsa_user_sgpr_private_segment_size 0
		.amdhsa_wavefront_size32 1
		.amdhsa_uses_dynamic_stack 0
		.amdhsa_enable_private_segment 0
		.amdhsa_system_sgpr_workgroup_id_x 1
		.amdhsa_system_sgpr_workgroup_id_y 0
		.amdhsa_system_sgpr_workgroup_id_z 0
		.amdhsa_system_sgpr_workgroup_info 0
		.amdhsa_system_vgpr_workitem_id 0
		.amdhsa_next_free_vgpr 66
		.amdhsa_next_free_sgpr 14
		.amdhsa_named_barrier_count 0
		.amdhsa_reserve_vcc 1
		.amdhsa_float_round_mode_32 0
		.amdhsa_float_round_mode_16_64 0
		.amdhsa_float_denorm_mode_32 3
		.amdhsa_float_denorm_mode_16_64 3
		.amdhsa_fp16_overflow 0
		.amdhsa_memory_ordered 1
		.amdhsa_forward_progress 1
		.amdhsa_inst_pref_size 57
		.amdhsa_round_robin_scheduling 0
		.amdhsa_exception_fp_ieee_invalid_op 0
		.amdhsa_exception_fp_denorm_src 0
		.amdhsa_exception_fp_ieee_div_zero 0
		.amdhsa_exception_fp_ieee_overflow 0
		.amdhsa_exception_fp_ieee_underflow 0
		.amdhsa_exception_fp_ieee_inexact 0
		.amdhsa_exception_int_div_zero 0
	.end_amdhsa_kernel
	.section	.text._ZN9rocsparseL51gtsv_nopivot_strided_batch_crpcr_pow2_shared_kernelILj128ELj64E21rocsparse_complex_numIdEEEviiiPKT1_S5_S5_PS3_,"axG",@progbits,_ZN9rocsparseL51gtsv_nopivot_strided_batch_crpcr_pow2_shared_kernelILj128ELj64E21rocsparse_complex_numIdEEEviiiPKT1_S5_S5_PS3_,comdat
.Lfunc_end70:
	.size	_ZN9rocsparseL51gtsv_nopivot_strided_batch_crpcr_pow2_shared_kernelILj128ELj64E21rocsparse_complex_numIdEEEviiiPKT1_S5_S5_PS3_, .Lfunc_end70-_ZN9rocsparseL51gtsv_nopivot_strided_batch_crpcr_pow2_shared_kernelILj128ELj64E21rocsparse_complex_numIdEEEviiiPKT1_S5_S5_PS3_
                                        ; -- End function
	.set _ZN9rocsparseL51gtsv_nopivot_strided_batch_crpcr_pow2_shared_kernelILj128ELj64E21rocsparse_complex_numIdEEEviiiPKT1_S5_S5_PS3_.num_vgpr, 66
	.set _ZN9rocsparseL51gtsv_nopivot_strided_batch_crpcr_pow2_shared_kernelILj128ELj64E21rocsparse_complex_numIdEEEviiiPKT1_S5_S5_PS3_.num_agpr, 0
	.set _ZN9rocsparseL51gtsv_nopivot_strided_batch_crpcr_pow2_shared_kernelILj128ELj64E21rocsparse_complex_numIdEEEviiiPKT1_S5_S5_PS3_.numbered_sgpr, 14
	.set _ZN9rocsparseL51gtsv_nopivot_strided_batch_crpcr_pow2_shared_kernelILj128ELj64E21rocsparse_complex_numIdEEEviiiPKT1_S5_S5_PS3_.num_named_barrier, 0
	.set _ZN9rocsparseL51gtsv_nopivot_strided_batch_crpcr_pow2_shared_kernelILj128ELj64E21rocsparse_complex_numIdEEEviiiPKT1_S5_S5_PS3_.private_seg_size, 0
	.set _ZN9rocsparseL51gtsv_nopivot_strided_batch_crpcr_pow2_shared_kernelILj128ELj64E21rocsparse_complex_numIdEEEviiiPKT1_S5_S5_PS3_.uses_vcc, 1
	.set _ZN9rocsparseL51gtsv_nopivot_strided_batch_crpcr_pow2_shared_kernelILj128ELj64E21rocsparse_complex_numIdEEEviiiPKT1_S5_S5_PS3_.uses_flat_scratch, 0
	.set _ZN9rocsparseL51gtsv_nopivot_strided_batch_crpcr_pow2_shared_kernelILj128ELj64E21rocsparse_complex_numIdEEEviiiPKT1_S5_S5_PS3_.has_dyn_sized_stack, 0
	.set _ZN9rocsparseL51gtsv_nopivot_strided_batch_crpcr_pow2_shared_kernelILj128ELj64E21rocsparse_complex_numIdEEEviiiPKT1_S5_S5_PS3_.has_recursion, 0
	.set _ZN9rocsparseL51gtsv_nopivot_strided_batch_crpcr_pow2_shared_kernelILj128ELj64E21rocsparse_complex_numIdEEEviiiPKT1_S5_S5_PS3_.has_indirect_call, 0
	.section	.AMDGPU.csdata,"",@progbits
; Kernel info:
; codeLenInByte = 7208
; TotalNumSgprs: 16
; NumVgprs: 66
; ScratchSize: 0
; MemoryBound: 0
; FloatMode: 240
; IeeeMode: 1
; LDSByteSize: 25600 bytes/workgroup (compile time only)
; SGPRBlocks: 0
; VGPRBlocks: 4
; NumSGPRsForWavesPerEU: 16
; NumVGPRsForWavesPerEU: 66
; NamedBarCnt: 0
; Occupancy: 12
; WaveLimiterHint : 0
; COMPUTE_PGM_RSRC2:SCRATCH_EN: 0
; COMPUTE_PGM_RSRC2:USER_SGPR: 2
; COMPUTE_PGM_RSRC2:TRAP_HANDLER: 0
; COMPUTE_PGM_RSRC2:TGID_X_EN: 1
; COMPUTE_PGM_RSRC2:TGID_Y_EN: 0
; COMPUTE_PGM_RSRC2:TGID_Z_EN: 0
; COMPUTE_PGM_RSRC2:TIDIG_COMP_CNT: 0
	.section	.text._ZN9rocsparseL51gtsv_nopivot_strided_batch_crpcr_pow2_shared_kernelILj256ELj64E21rocsparse_complex_numIdEEEviiiPKT1_S5_S5_PS3_,"axG",@progbits,_ZN9rocsparseL51gtsv_nopivot_strided_batch_crpcr_pow2_shared_kernelILj256ELj64E21rocsparse_complex_numIdEEEviiiPKT1_S5_S5_PS3_,comdat
	.globl	_ZN9rocsparseL51gtsv_nopivot_strided_batch_crpcr_pow2_shared_kernelILj256ELj64E21rocsparse_complex_numIdEEEviiiPKT1_S5_S5_PS3_ ; -- Begin function _ZN9rocsparseL51gtsv_nopivot_strided_batch_crpcr_pow2_shared_kernelILj256ELj64E21rocsparse_complex_numIdEEEviiiPKT1_S5_S5_PS3_
	.p2align	8
	.type	_ZN9rocsparseL51gtsv_nopivot_strided_batch_crpcr_pow2_shared_kernelILj256ELj64E21rocsparse_complex_numIdEEEviiiPKT1_S5_S5_PS3_,@function
_ZN9rocsparseL51gtsv_nopivot_strided_batch_crpcr_pow2_shared_kernelILj256ELj64E21rocsparse_complex_numIdEEEviiiPKT1_S5_S5_PS3_: ; @_ZN9rocsparseL51gtsv_nopivot_strided_batch_crpcr_pow2_shared_kernelILj256ELj64E21rocsparse_complex_numIdEEEviiiPKT1_S5_S5_PS3_
; %bb.0:
	s_load_b32 s2, s[0:1], 0x8
	s_bfe_u32 s3, ttmp6, 0x4000c
	s_and_b32 s12, ttmp6, 15
	s_add_co_i32 s3, s3, 1
	s_getreg_b32 s13, hwreg(HW_REG_IB_STS2, 6, 4)
	s_mul_i32 s3, ttmp9, s3
	s_load_b256 s[4:11], s[0:1], 0x10
	s_add_co_i32 s12, s12, s3
	s_cmp_eq_u32 s13, 0
	v_dual_lshlrev_b32 v22, 4, v0 :: v_dual_add_nc_u32 v4, 1, v0
	s_wait_xcnt 0x0
	s_cselect_b32 s0, ttmp9, s12
	s_delay_alu instid0(VALU_DEP_1)
	v_or_b32_e32 v1, 0x1000, v22
	v_or_b32_e32 v2, 0x2000, v22
	;; [unrolled: 1-line block ×6, first 2 shown]
	s_wait_kmcnt 0x0
	v_mad_u32 v18, s2, s0, v0
	v_cmp_gt_u32_e64 s0, 0x100, v0
	v_or_b32_e32 v23, 0x9000, v22
	s_delay_alu instid0(VALU_DEP_3)
	v_add_nc_u32_e32 v20, 0x100, v18
	s_clause 0x1
	global_load_b128 v[6:9], v18, s[4:5] scale_offset
	global_load_b128 v[10:13], v20, s[4:5] scale_offset
	s_clause 0x1
	global_load_b128 v[14:17], v18, s[6:7] scale_offset
	global_load_b128 v[24:27], v20, s[6:7] scale_offset
	;; [unrolled: 3-line block ×4, first 2 shown]
	s_wait_loadcnt 0x7
	ds_store_2addr_b64 v22, v[6:7], v[8:9] offset1:1
	s_wait_loadcnt 0x6
	ds_store_2addr_b64 v1, v[10:11], v[12:13] offset1:1
	;; [unrolled: 2-line block ×8, first 2 shown]
	s_wait_dscnt 0x0
	s_barrier_signal -1
	s_barrier_wait -1
	s_and_saveexec_b32 s2, s0
	s_cbranch_execz .LBB71_2
; %bb.1:
	v_dual_lshlrev_b32 v1, 5, v4 :: v_dual_lshlrev_b32 v2, 1, v4
	ds_load_b128 v[6:9], v1 offset:8160
	ds_load_b128 v[10:13], v1 offset:8176
	v_min_u32_e32 v5, 0x1ff, v2
	v_subrev_nc_u32_e32 v21, 32, v1
	v_add_nc_u32_e32 v19, -16, v1
	s_wait_dscnt 0x1
	v_mul_f64_e32 v[2:3], v[8:9], v[8:9]
	s_delay_alu instid0(VALU_DEP_1) | instskip(NEXT) | instid1(VALU_DEP_1)
	v_fmac_f64_e32 v[2:3], v[6:7], v[6:7]
	v_div_scale_f64 v[28:29], null, v[2:3], v[2:3], 1.0
	v_div_scale_f64 v[34:35], vcc_lo, 1.0, v[2:3], 1.0
	s_delay_alu instid0(VALU_DEP_2) | instskip(SKIP_1) | instid1(TRANS32_DEP_1)
	v_rcp_f64_e32 v[38:39], v[28:29]
	v_nop
	v_fma_f64 v[30:31], -v[28:29], v[38:39], 1.0
	s_delay_alu instid0(VALU_DEP_1) | instskip(NEXT) | instid1(VALU_DEP_1)
	v_fmac_f64_e32 v[38:39], v[38:39], v[30:31]
	v_fma_f64 v[30:31], -v[28:29], v[38:39], 1.0
	s_delay_alu instid0(VALU_DEP_1) | instskip(NEXT) | instid1(VALU_DEP_1)
	v_fmac_f64_e32 v[38:39], v[38:39], v[30:31]
	v_dual_mul_f64 v[42:43], v[34:35], v[38:39] :: v_dual_lshlrev_b32 v5, 4, v5
	ds_load_b128 v[14:17], v5 offset:8192
	ds_load_b128 v[24:27], v5 offset:16384
	s_wait_dscnt 0x1
	v_mul_f64_e32 v[44:45], v[16:17], v[16:17]
	v_fma_f64 v[50:51], -v[28:29], v[42:43], v[34:35]
	ds_load_b128 v[28:31], v19
	v_fmac_f64_e32 v[44:45], v[14:15], v[14:15]
	v_div_fmas_f64 v[50:51], v[50:51], v[38:39], v[42:43]
	s_delay_alu instid0(VALU_DEP_2)
	v_div_scale_f64 v[36:37], null, v[44:45], v[44:45], 1.0
	v_div_scale_f64 v[40:41], s1, 1.0, v[44:45], 1.0
	s_mov_b32 vcc_lo, s1
	v_div_fixup_f64 v[2:3], v[50:51], v[2:3], 1.0
	v_rcp_f64_e32 v[46:47], v[36:37]
	v_nop
	s_delay_alu instid0(TRANS32_DEP_1) | instskip(NEXT) | instid1(VALU_DEP_1)
	v_fma_f64 v[32:33], -v[36:37], v[46:47], 1.0
	v_fmac_f64_e32 v[46:47], v[46:47], v[32:33]
	s_delay_alu instid0(VALU_DEP_1) | instskip(NEXT) | instid1(VALU_DEP_1)
	v_fma_f64 v[32:33], -v[36:37], v[46:47], 1.0
	v_fmac_f64_e32 v[46:47], v[46:47], v[32:33]
	ds_load_b128 v[32:35], v21
	s_wait_dscnt 0x1
	v_mul_f64_e64 v[54:55], v[8:9], -v[28:29]
	v_mul_f64_e32 v[48:49], v[40:41], v[46:47]
	s_delay_alu instid0(VALU_DEP_2) | instskip(NEXT) | instid1(VALU_DEP_2)
	v_fmac_f64_e32 v[54:55], v[30:31], v[6:7]
	v_fma_f64 v[52:53], -v[36:37], v[48:49], v[40:41]
	ds_load_b128 v[36:39], v1 offset:16368
	ds_load_b128 v[40:43], v1 offset:16352
	s_wait_dscnt 0x1
	v_mul_f64_e64 v[56:57], v[16:17], -v[36:37]
	v_mul_f64_e32 v[50:51], v[16:17], v[38:39]
	v_div_fmas_f64 v[46:47], v[52:53], v[46:47], v[48:49]
	v_mul_f64_e32 v[48:49], v[8:9], v[30:31]
	s_delay_alu instid0(VALU_DEP_4) | instskip(NEXT) | instid1(VALU_DEP_4)
	v_fmac_f64_e32 v[56:57], v[38:39], v[14:15]
	v_fmac_f64_e32 v[50:51], v[36:37], v[14:15]
	ds_load_b128 v[14:17], v1 offset:32752
	v_div_fixup_f64 v[44:45], v[46:47], v[44:45], 1.0
	v_fmac_f64_e32 v[48:49], v[28:29], v[6:7]
	v_mul_f64_e32 v[46:47], v[2:3], v[54:55]
	ds_load_b128 v[6:9], v1 offset:32736
	ds_load_b128 v[28:31], v5
	ds_load_b128 v[36:39], v5 offset:32768
	v_mul_f64_e32 v[52:53], v[44:45], v[56:57]
	v_mul_f64_e32 v[2:3], v[2:3], v[48:49]
	s_wait_dscnt 0x2
	v_mul_f64_e64 v[48:49], v[46:47], -v[8:9]
	v_mul_f64_e32 v[54:55], v[46:47], v[6:7]
	v_mul_f64_e64 v[56:57], v[46:47], -v[42:43]
	v_mul_f64_e32 v[58:59], v[46:47], v[40:41]
	v_mul_f64_e32 v[44:45], v[44:45], v[50:51]
	s_wait_dscnt 0x0
	v_mul_f64_e64 v[62:63], v[52:53], -v[38:39]
	v_mul_f64_e32 v[64:65], v[52:53], v[36:37]
	v_fmac_f64_e32 v[48:49], v[6:7], v[2:3]
	v_fmac_f64_e32 v[54:55], v[8:9], v[2:3]
	v_mul_f64_e64 v[50:51], v[52:53], -v[30:31]
	v_mul_f64_e32 v[60:61], v[52:53], v[28:29]
	v_fmac_f64_e32 v[56:57], v[40:41], v[2:3]
	v_fmac_f64_e32 v[58:59], v[42:43], v[2:3]
	v_mul_f64_e32 v[6:7], v[46:47], v[34:35]
	v_mul_f64_e64 v[8:9], v[46:47], -v[32:33]
	v_mul_f64_e32 v[40:41], v[52:53], v[26:27]
	v_fmac_f64_e32 v[62:63], v[36:37], v[44:45]
	v_fmac_f64_e32 v[64:65], v[38:39], v[44:45]
	v_add_f64_e64 v[14:15], v[14:15], -v[48:49]
	v_add_f64_e64 v[16:17], v[16:17], -v[54:55]
	v_fmac_f64_e32 v[50:51], v[28:29], v[44:45]
	v_fmac_f64_e32 v[60:61], v[30:31], v[44:45]
	v_add_f64_e64 v[28:29], v[10:11], -v[56:57]
	v_add_f64_e64 v[12:13], v[12:13], -v[58:59]
	v_mul_f64_e64 v[36:37], v[52:53], -v[24:25]
	v_fma_f64 v[6:7], -v[32:33], v[2:3], v[6:7]
	v_fma_f64 v[8:9], -v[34:35], v[2:3], v[8:9]
	;; [unrolled: 1-line block ×3, first 2 shown]
	v_add_f64_e64 v[14:15], v[14:15], -v[62:63]
	v_add_f64_e64 v[16:17], v[16:17], -v[64:65]
	;; [unrolled: 1-line block ×4, first 2 shown]
	v_fma_f64 v[12:13], -v[26:27], v[44:45], v[36:37]
	ds_store_b128 v1, v[14:17] offset:32752
	ds_store_b128 v19, v[6:9]
	ds_store_b128 v1, v[28:31] offset:8176
	ds_store_b128 v1, v[10:13] offset:16368
.LBB71_2:
	s_or_b32 exec_lo, exec_lo, s2
	v_cmp_gt_u32_e64 s1, 0x80, v0
	s_wait_dscnt 0x0
	s_barrier_signal -1
	s_barrier_wait -1
	s_and_saveexec_b32 s3, s1
	s_cbranch_execz .LBB71_4
; %bb.3:
	v_lshl_or_b32 v2, v4, 2, 1
	s_delay_alu instid0(VALU_DEP_1) | instskip(NEXT) | instid1(VALU_DEP_1)
	v_min_u32_e32 v5, 0x1ff, v2
	v_dual_lshlrev_b32 v1, 6, v4 :: v_dual_lshlrev_b32 v5, 4, v5
	ds_load_b128 v[6:9], v1 offset:8144
	ds_load_b128 v[10:13], v1 offset:8176
	v_subrev_nc_u32_e32 v21, 48, v1
	ds_load_b128 v[14:17], v5 offset:8192
	ds_load_b128 v[24:27], v5 offset:16384
	v_add_nc_u32_e32 v19, -16, v1
	s_wait_dscnt 0x3
	v_mul_f64_e32 v[2:3], v[8:9], v[8:9]
	s_wait_dscnt 0x1
	v_mul_f64_e32 v[44:45], v[16:17], v[16:17]
	s_delay_alu instid0(VALU_DEP_2) | instskip(NEXT) | instid1(VALU_DEP_2)
	v_fmac_f64_e32 v[2:3], v[6:7], v[6:7]
	v_fmac_f64_e32 v[44:45], v[14:15], v[14:15]
	s_delay_alu instid0(VALU_DEP_2) | instskip(SKIP_1) | instid1(VALU_DEP_3)
	v_div_scale_f64 v[28:29], null, v[2:3], v[2:3], 1.0
	v_div_scale_f64 v[34:35], vcc_lo, 1.0, v[2:3], 1.0
	v_div_scale_f64 v[36:37], null, v[44:45], v[44:45], 1.0
	v_div_scale_f64 v[40:41], s2, 1.0, v[44:45], 1.0
	s_delay_alu instid0(VALU_DEP_4) | instskip(NEXT) | instid1(VALU_DEP_2)
	v_rcp_f64_e32 v[38:39], v[28:29]
	v_rcp_f64_e32 v[46:47], v[36:37]
	s_delay_alu instid0(TRANS32_DEP_2) | instskip(NEXT) | instid1(TRANS32_DEP_1)
	v_fma_f64 v[30:31], -v[28:29], v[38:39], 1.0
	v_fma_f64 v[32:33], -v[36:37], v[46:47], 1.0
	s_delay_alu instid0(VALU_DEP_2) | instskip(NEXT) | instid1(VALU_DEP_2)
	v_fmac_f64_e32 v[38:39], v[38:39], v[30:31]
	v_fmac_f64_e32 v[46:47], v[46:47], v[32:33]
	s_delay_alu instid0(VALU_DEP_2) | instskip(NEXT) | instid1(VALU_DEP_2)
	v_fma_f64 v[30:31], -v[28:29], v[38:39], 1.0
	v_fma_f64 v[32:33], -v[36:37], v[46:47], 1.0
	s_delay_alu instid0(VALU_DEP_2) | instskip(NEXT) | instid1(VALU_DEP_2)
	v_fmac_f64_e32 v[38:39], v[38:39], v[30:31]
	v_fmac_f64_e32 v[46:47], v[46:47], v[32:33]
	s_delay_alu instid0(VALU_DEP_2) | instskip(NEXT) | instid1(VALU_DEP_2)
	v_mul_f64_e32 v[42:43], v[34:35], v[38:39]
	v_mul_f64_e32 v[48:49], v[40:41], v[46:47]
	s_delay_alu instid0(VALU_DEP_2)
	v_fma_f64 v[50:51], -v[28:29], v[42:43], v[34:35]
	ds_load_b128 v[28:31], v19
	ds_load_b128 v[32:35], v21
	v_fma_f64 v[52:53], -v[36:37], v[48:49], v[40:41]
	s_wait_dscnt 0x1
	v_mul_f64_e64 v[54:55], v[8:9], -v[28:29]
	v_div_fmas_f64 v[50:51], v[50:51], v[38:39], v[42:43]
	ds_load_b128 v[36:39], v1 offset:16368
	ds_load_b128 v[40:43], v1 offset:16336
	s_mov_b32 vcc_lo, s2
	v_div_fmas_f64 v[46:47], v[52:53], v[46:47], v[48:49]
	v_mul_f64_e32 v[48:49], v[8:9], v[30:31]
	s_wait_dscnt 0x1
	v_mul_f64_e64 v[56:57], v[16:17], -v[36:37]
	v_fmac_f64_e32 v[54:55], v[30:31], v[6:7]
	v_div_fixup_f64 v[2:3], v[50:51], v[2:3], 1.0
	v_mul_f64_e32 v[50:51], v[16:17], v[38:39]
	v_div_fixup_f64 v[44:45], v[46:47], v[44:45], 1.0
	v_fmac_f64_e32 v[48:49], v[28:29], v[6:7]
	ds_load_b128 v[6:9], v1 offset:32720
	v_fmac_f64_e32 v[56:57], v[38:39], v[14:15]
	v_mul_f64_e32 v[46:47], v[2:3], v[54:55]
	v_fmac_f64_e32 v[50:51], v[36:37], v[14:15]
	ds_load_b128 v[14:17], v1 offset:32752
	ds_load_b128 v[28:31], v5
	ds_load_b128 v[36:39], v5 offset:32768
	v_mul_f64_e32 v[2:3], v[2:3], v[48:49]
	v_mul_f64_e32 v[52:53], v[44:45], v[56:57]
	s_wait_dscnt 0x3
	v_mul_f64_e64 v[48:49], v[46:47], -v[8:9]
	v_mul_f64_e32 v[54:55], v[46:47], v[6:7]
	v_mul_f64_e64 v[56:57], v[46:47], -v[42:43]
	v_mul_f64_e32 v[58:59], v[46:47], v[40:41]
	v_mul_f64_e32 v[44:45], v[44:45], v[50:51]
	s_wait_dscnt 0x0
	v_mul_f64_e64 v[62:63], v[52:53], -v[38:39]
	v_mul_f64_e32 v[64:65], v[52:53], v[36:37]
	v_mul_f64_e64 v[50:51], v[52:53], -v[30:31]
	v_mul_f64_e32 v[60:61], v[52:53], v[28:29]
	v_fmac_f64_e32 v[48:49], v[6:7], v[2:3]
	v_fmac_f64_e32 v[54:55], v[8:9], v[2:3]
	v_fmac_f64_e32 v[56:57], v[40:41], v[2:3]
	v_fmac_f64_e32 v[58:59], v[42:43], v[2:3]
	v_mul_f64_e32 v[6:7], v[46:47], v[34:35]
	v_mul_f64_e64 v[8:9], v[46:47], -v[32:33]
	v_mul_f64_e32 v[40:41], v[52:53], v[26:27]
	v_fmac_f64_e32 v[62:63], v[36:37], v[44:45]
	v_fmac_f64_e32 v[64:65], v[38:39], v[44:45]
	;; [unrolled: 1-line block ×4, first 2 shown]
	v_mul_f64_e64 v[36:37], v[52:53], -v[24:25]
	v_add_f64_e64 v[14:15], v[14:15], -v[48:49]
	v_add_f64_e64 v[16:17], v[16:17], -v[54:55]
	;; [unrolled: 1-line block ×4, first 2 shown]
	v_fma_f64 v[6:7], -v[32:33], v[2:3], v[6:7]
	v_fma_f64 v[8:9], -v[34:35], v[2:3], v[8:9]
	;; [unrolled: 1-line block ×3, first 2 shown]
	v_add_f64_e64 v[14:15], v[14:15], -v[62:63]
	v_add_f64_e64 v[16:17], v[16:17], -v[64:65]
	;; [unrolled: 1-line block ×4, first 2 shown]
	v_fma_f64 v[12:13], -v[26:27], v[44:45], v[36:37]
	ds_store_b128 v1, v[14:17] offset:32752
	ds_store_b128 v19, v[6:9]
	ds_store_b128 v1, v[28:31] offset:8176
	ds_store_b128 v1, v[10:13] offset:16368
.LBB71_4:
	s_or_b32 exec_lo, exec_lo, s3
	v_cmp_gt_u32_e64 s2, 64, v0
	v_lshlrev_b32_e32 v1, 7, v4
	s_wait_dscnt 0x0
	s_barrier_signal -1
	s_barrier_wait -1
	s_and_saveexec_b32 s4, s2
	s_cbranch_execz .LBB71_6
; %bb.5:
	ds_load_b128 v[6:9], v1 offset:8112
	ds_load_b128 v[10:13], v1 offset:8176
	v_lshl_or_b32 v2, v4, 3, 3
	v_add_nc_u32_e32 v21, 0xffffffb0, v1
	v_add_nc_u32_e32 v19, -16, v1
	s_delay_alu instid0(VALU_DEP_3) | instskip(SKIP_2) | instid1(VALU_DEP_1)
	v_min_u32_e32 v5, 0x1ff, v2
	s_wait_dscnt 0x1
	v_mul_f64_e32 v[2:3], v[8:9], v[8:9]
	v_fmac_f64_e32 v[2:3], v[6:7], v[6:7]
	s_delay_alu instid0(VALU_DEP_1) | instskip(SKIP_1) | instid1(VALU_DEP_2)
	v_div_scale_f64 v[28:29], null, v[2:3], v[2:3], 1.0
	v_div_scale_f64 v[34:35], vcc_lo, 1.0, v[2:3], 1.0
	v_rcp_f64_e32 v[38:39], v[28:29]
	v_nop
	s_delay_alu instid0(TRANS32_DEP_1) | instskip(NEXT) | instid1(VALU_DEP_1)
	v_fma_f64 v[30:31], -v[28:29], v[38:39], 1.0
	v_fmac_f64_e32 v[38:39], v[38:39], v[30:31]
	s_delay_alu instid0(VALU_DEP_1) | instskip(NEXT) | instid1(VALU_DEP_1)
	v_fma_f64 v[30:31], -v[28:29], v[38:39], 1.0
	v_fmac_f64_e32 v[38:39], v[38:39], v[30:31]
	s_delay_alu instid0(VALU_DEP_1)
	v_dual_mul_f64 v[42:43], v[34:35], v[38:39] :: v_dual_lshlrev_b32 v5, 4, v5
	ds_load_b128 v[14:17], v5 offset:8192
	ds_load_b128 v[24:27], v5 offset:16384
	s_wait_dscnt 0x1
	v_mul_f64_e32 v[44:45], v[16:17], v[16:17]
	v_fma_f64 v[50:51], -v[28:29], v[42:43], v[34:35]
	ds_load_b128 v[28:31], v19
	v_fmac_f64_e32 v[44:45], v[14:15], v[14:15]
	v_div_fmas_f64 v[50:51], v[50:51], v[38:39], v[42:43]
	s_delay_alu instid0(VALU_DEP_2)
	v_div_scale_f64 v[36:37], null, v[44:45], v[44:45], 1.0
	v_div_scale_f64 v[40:41], s3, 1.0, v[44:45], 1.0
	s_mov_b32 vcc_lo, s3
	v_div_fixup_f64 v[2:3], v[50:51], v[2:3], 1.0
	v_rcp_f64_e32 v[46:47], v[36:37]
	v_nop
	s_delay_alu instid0(TRANS32_DEP_1) | instskip(NEXT) | instid1(VALU_DEP_1)
	v_fma_f64 v[32:33], -v[36:37], v[46:47], 1.0
	v_fmac_f64_e32 v[46:47], v[46:47], v[32:33]
	s_delay_alu instid0(VALU_DEP_1) | instskip(NEXT) | instid1(VALU_DEP_1)
	v_fma_f64 v[32:33], -v[36:37], v[46:47], 1.0
	v_fmac_f64_e32 v[46:47], v[46:47], v[32:33]
	ds_load_b128 v[32:35], v21
	s_wait_dscnt 0x1
	v_mul_f64_e64 v[54:55], v[8:9], -v[28:29]
	v_mul_f64_e32 v[48:49], v[40:41], v[46:47]
	s_delay_alu instid0(VALU_DEP_2) | instskip(NEXT) | instid1(VALU_DEP_2)
	v_fmac_f64_e32 v[54:55], v[30:31], v[6:7]
	v_fma_f64 v[52:53], -v[36:37], v[48:49], v[40:41]
	ds_load_b128 v[36:39], v1 offset:16368
	ds_load_b128 v[40:43], v1 offset:16304
	s_wait_dscnt 0x1
	v_mul_f64_e64 v[56:57], v[16:17], -v[36:37]
	v_mul_f64_e32 v[50:51], v[16:17], v[38:39]
	v_div_fmas_f64 v[46:47], v[52:53], v[46:47], v[48:49]
	v_mul_f64_e32 v[48:49], v[8:9], v[30:31]
	s_delay_alu instid0(VALU_DEP_4) | instskip(NEXT) | instid1(VALU_DEP_4)
	v_fmac_f64_e32 v[56:57], v[38:39], v[14:15]
	v_fmac_f64_e32 v[50:51], v[36:37], v[14:15]
	ds_load_b128 v[14:17], v1 offset:32752
	v_div_fixup_f64 v[44:45], v[46:47], v[44:45], 1.0
	v_fmac_f64_e32 v[48:49], v[28:29], v[6:7]
	v_mul_f64_e32 v[46:47], v[2:3], v[54:55]
	ds_load_b128 v[6:9], v1 offset:32688
	ds_load_b128 v[28:31], v5
	ds_load_b128 v[36:39], v5 offset:32768
	v_mul_f64_e32 v[52:53], v[44:45], v[56:57]
	v_mul_f64_e32 v[2:3], v[2:3], v[48:49]
	s_wait_dscnt 0x4
	v_mul_f64_e64 v[48:49], v[46:47], -v[42:43]
	v_mul_f64_e32 v[54:55], v[46:47], v[40:41]
	s_wait_dscnt 0x2
	v_mul_f64_e64 v[56:57], v[46:47], -v[8:9]
	v_mul_f64_e32 v[58:59], v[46:47], v[6:7]
	v_mul_f64_e32 v[44:45], v[44:45], v[50:51]
	s_wait_dscnt 0x1
	v_mul_f64_e64 v[50:51], v[52:53], -v[30:31]
	v_mul_f64_e32 v[60:61], v[52:53], v[28:29]
	v_fmac_f64_e32 v[48:49], v[40:41], v[2:3]
	v_fmac_f64_e32 v[54:55], v[42:43], v[2:3]
	s_wait_dscnt 0x0
	v_mul_f64_e64 v[62:63], v[52:53], -v[38:39]
	v_mul_f64_e32 v[64:65], v[52:53], v[36:37]
	v_fmac_f64_e32 v[56:57], v[6:7], v[2:3]
	v_fmac_f64_e32 v[58:59], v[8:9], v[2:3]
	v_mul_f64_e32 v[6:7], v[46:47], v[34:35]
	v_mul_f64_e64 v[8:9], v[46:47], -v[32:33]
	v_mul_f64_e32 v[40:41], v[52:53], v[26:27]
	v_fmac_f64_e32 v[50:51], v[28:29], v[44:45]
	v_fmac_f64_e32 v[60:61], v[30:31], v[44:45]
	v_add_f64_e64 v[28:29], v[10:11], -v[48:49]
	v_add_f64_e64 v[12:13], v[12:13], -v[54:55]
	v_fmac_f64_e32 v[62:63], v[36:37], v[44:45]
	v_fmac_f64_e32 v[64:65], v[38:39], v[44:45]
	v_add_f64_e64 v[30:31], v[14:15], -v[56:57]
	v_add_f64_e64 v[36:37], v[16:17], -v[58:59]
	v_mul_f64_e64 v[38:39], v[52:53], -v[24:25]
	v_fma_f64 v[6:7], -v[32:33], v[2:3], v[6:7]
	v_fma_f64 v[8:9], -v[34:35], v[2:3], v[8:9]
	;; [unrolled: 1-line block ×3, first 2 shown]
	v_add_f64_e64 v[14:15], v[28:29], -v[50:51]
	v_add_f64_e64 v[16:17], v[12:13], -v[60:61]
	v_add_f64_e64 v[28:29], v[30:31], -v[62:63]
	v_add_f64_e64 v[30:31], v[36:37], -v[64:65]
	v_fma_f64 v[12:13], -v[26:27], v[44:45], v[38:39]
	ds_store_b128 v1, v[14:17] offset:8176
	ds_store_b128 v19, v[6:9]
	ds_store_b128 v1, v[28:31] offset:32752
	ds_store_b128 v1, v[10:13] offset:16368
.LBB71_6:
	s_or_b32 exec_lo, exec_lo, s4
	s_wait_dscnt 0x0
	s_barrier_signal -1
	s_barrier_wait -1
	s_and_saveexec_b32 s3, s2
	s_cbranch_execz .LBB71_8
; %bb.7:
	v_add_nc_u32_e32 v2, -16, v1
	ds_load_b128 v[6:9], v2
	ds_load_b128 v[10:13], v1 offset:8176
	ds_load_b128 v[14:17], v1 offset:16368
	;; [unrolled: 1-line block ×3, first 2 shown]
	s_wait_dscnt 0x3
	ds_store_b128 v22, v[6:9] offset:40960
	s_wait_dscnt 0x3
	ds_store_b128 v22, v[10:13] offset:41984
	;; [unrolled: 2-line block ×4, first 2 shown]
.LBB71_8:
	s_or_b32 exec_lo, exec_lo, s3
	v_or_b32_e32 v23, 0xa000, v22
	v_add_nc_u32_e32 v21, 0xa800, v22
	v_add_nc_u32_e32 v24, 0xa400, v22
	v_or_b32_e32 v19, 0xb000, v22
	s_wait_dscnt 0x0
	s_barrier_signal -1
	s_barrier_wait -1
                                        ; implicit-def: $vgpr14_vgpr15
                                        ; implicit-def: $vgpr6_vgpr7
                                        ; implicit-def: $vgpr10_vgpr11
                                        ; implicit-def: $vgpr2_vgpr3
	s_and_saveexec_b32 s4, s2
	s_cbranch_execz .LBB71_10
; %bb.9:
	v_sub_nc_u32_e64 v2, v0, 1 clamp
	v_min_u32_e32 v10, 63, v4
	s_delay_alu instid0(VALU_DEP_2) | instskip(NEXT) | instid1(VALU_DEP_2)
	v_lshlrev_b32_e32 v25, 4, v2
	v_lshlrev_b32_e32 v52, 4, v10
	ds_load_b128 v[6:9], v25 offset:41984
	ds_load_b128 v[2:5], v25 offset:40960
	;; [unrolled: 1-line block ×4, first 2 shown]
	s_wait_dscnt 0x3
	v_mul_f64_e32 v[34:35], v[8:9], v[8:9]
	s_wait_dscnt 0x1
	v_mul_f64_e32 v[36:37], v[12:13], v[12:13]
	s_delay_alu instid0(VALU_DEP_2) | instskip(NEXT) | instid1(VALU_DEP_2)
	v_fmac_f64_e32 v[34:35], v[6:7], v[6:7]
	v_fmac_f64_e32 v[36:37], v[10:11], v[10:11]
	s_delay_alu instid0(VALU_DEP_2) | instskip(NEXT) | instid1(VALU_DEP_2)
	v_div_scale_f64 v[26:27], null, v[34:35], v[34:35], 1.0
	v_div_scale_f64 v[38:39], null, v[36:37], v[36:37], 1.0
	v_div_scale_f64 v[32:33], vcc_lo, 1.0, v[34:35], 1.0
	v_div_scale_f64 v[44:45], s3, 1.0, v[36:37], 1.0
	s_delay_alu instid0(VALU_DEP_4) | instskip(NEXT) | instid1(VALU_DEP_3)
	v_rcp_f64_e32 v[40:41], v[26:27]
	v_rcp_f64_e32 v[42:43], v[38:39]
	s_delay_alu instid0(TRANS32_DEP_2) | instskip(NEXT) | instid1(TRANS32_DEP_1)
	v_fma_f64 v[28:29], -v[26:27], v[40:41], 1.0
	v_fma_f64 v[30:31], -v[38:39], v[42:43], 1.0
	s_delay_alu instid0(VALU_DEP_2) | instskip(NEXT) | instid1(VALU_DEP_2)
	v_fmac_f64_e32 v[40:41], v[40:41], v[28:29]
	v_fmac_f64_e32 v[42:43], v[42:43], v[30:31]
	s_delay_alu instid0(VALU_DEP_2) | instskip(NEXT) | instid1(VALU_DEP_2)
	v_fma_f64 v[28:29], -v[26:27], v[40:41], 1.0
	v_fma_f64 v[30:31], -v[38:39], v[42:43], 1.0
	s_delay_alu instid0(VALU_DEP_2) | instskip(NEXT) | instid1(VALU_DEP_2)
	v_fmac_f64_e32 v[40:41], v[40:41], v[28:29]
	v_fmac_f64_e32 v[42:43], v[42:43], v[30:31]
	s_delay_alu instid0(VALU_DEP_2) | instskip(NEXT) | instid1(VALU_DEP_2)
	v_mul_f64_e32 v[46:47], v[32:33], v[40:41]
	v_mul_f64_e32 v[48:49], v[44:45], v[42:43]
	s_delay_alu instid0(VALU_DEP_2)
	v_fma_f64 v[50:51], -v[26:27], v[46:47], v[32:33]
	ds_load_b128 v[26:29], v23
	ds_load_b128 v[30:33], v21
	v_fma_f64 v[38:39], -v[38:39], v[48:49], v[44:45]
	s_wait_dscnt 0x1
	v_mul_f64_e64 v[44:45], v[8:9], -v[26:27]
	v_div_fmas_f64 v[40:41], v[50:51], v[40:41], v[46:47]
	s_mov_b32 vcc_lo, s3
	s_wait_dscnt 0x0
	v_mul_f64_e64 v[46:47], v[12:13], -v[30:31]
	s_delay_alu instid0(VALU_DEP_4)
	v_div_fmas_f64 v[38:39], v[38:39], v[42:43], v[48:49]
	v_mul_f64_e32 v[42:43], v[8:9], v[28:29]
	v_fmac_f64_e32 v[44:45], v[28:29], v[6:7]
	v_div_fixup_f64 v[34:35], v[40:41], v[34:35], 1.0
	v_mul_f64_e32 v[40:41], v[12:13], v[32:33]
	v_fmac_f64_e32 v[46:47], v[32:33], v[10:11]
	v_div_fixup_f64 v[36:37], v[38:39], v[36:37], 1.0
	v_fmac_f64_e32 v[42:43], v[26:27], v[6:7]
	ds_load_b128 v[6:9], v25 offset:43008
	ds_load_b128 v[26:29], v25 offset:45056
	v_mul_f64_e32 v[38:39], v[34:35], v[44:45]
	v_fmac_f64_e32 v[40:41], v[30:31], v[10:11]
	ds_load_b128 v[10:13], v52 offset:45056
	ds_load_b128 v[30:33], v52 offset:43008
	v_mul_f64_e32 v[44:45], v[36:37], v[46:47]
	v_mul_f64_e32 v[34:35], v[34:35], v[42:43]
	s_wait_dscnt 0x3
	v_mul_f64_e64 v[42:43], v[38:39], -v[8:9]
	v_mul_f64_e32 v[46:47], v[38:39], v[6:7]
	s_wait_dscnt 0x2
	v_mul_f64_e64 v[48:49], v[38:39], -v[28:29]
	v_mul_f64_e32 v[50:51], v[38:39], v[26:27]
	v_mul_f64_e32 v[36:37], v[36:37], v[40:41]
	v_mul_f64_e64 v[40:41], v[44:45], -v[16:17]
	v_mul_f64_e32 v[52:53], v[44:45], v[14:15]
	s_wait_dscnt 0x1
	v_mul_f64_e64 v[54:55], v[44:45], -v[12:13]
	v_mul_f64_e32 v[56:57], v[44:45], v[10:11]
	v_mul_f64_e32 v[58:59], v[38:39], v[4:5]
	v_mul_f64_e64 v[38:39], v[38:39], -v[2:3]
	s_wait_dscnt 0x0
	v_mul_f64_e32 v[60:61], v[44:45], v[32:33]
	v_fmac_f64_e32 v[42:43], v[6:7], v[34:35]
	v_fmac_f64_e32 v[46:47], v[8:9], v[34:35]
	;; [unrolled: 1-line block ×4, first 2 shown]
	ds_load_b128 v[6:9], v24
	ds_load_b128 v[26:29], v19
	v_fmac_f64_e32 v[40:41], v[14:15], v[36:37]
	v_fmac_f64_e32 v[52:53], v[16:17], v[36:37]
	;; [unrolled: 1-line block ×4, first 2 shown]
	v_fma_f64 v[2:3], -v[2:3], v[34:35], v[58:59]
	v_fma_f64 v[4:5], -v[4:5], v[34:35], v[38:39]
	s_wait_dscnt 0x1
	v_add_f64_e64 v[10:11], v[6:7], -v[42:43]
	v_add_f64_e64 v[8:9], v[8:9], -v[46:47]
	s_wait_dscnt 0x0
	v_add_f64_e64 v[14:15], v[26:27], -v[48:49]
	v_add_f64_e64 v[16:17], v[28:29], -v[50:51]
	v_mul_f64_e64 v[26:27], v[44:45], -v[30:31]
	v_fma_f64 v[6:7], -v[30:31], v[36:37], v[60:61]
	v_add_f64_e64 v[10:11], v[10:11], -v[40:41]
	v_add_f64_e64 v[12:13], v[8:9], -v[52:53]
	;; [unrolled: 1-line block ×4, first 2 shown]
	v_fma_f64 v[8:9], -v[32:33], v[36:37], v[26:27]
.LBB71_10:
	s_or_b32 exec_lo, exec_lo, s4
	s_barrier_signal -1
	s_barrier_wait -1
	s_and_saveexec_b32 s3, s2
	s_cbranch_execz .LBB71_12
; %bb.11:
	ds_store_b128 v24, v[10:13]
	ds_store_b128 v19, v[14:17]
	;; [unrolled: 1-line block ×4, first 2 shown]
.LBB71_12:
	s_or_b32 exec_lo, exec_lo, s3
	s_wait_dscnt 0x0
	s_barrier_signal -1
	s_barrier_wait -1
	s_and_saveexec_b32 s4, s2
	s_cbranch_execz .LBB71_14
; %bb.13:
	v_sub_nc_u32_e64 v2, v0, 2 clamp
	v_min_u32_e32 v10, 61, v0
	s_delay_alu instid0(VALU_DEP_2) | instskip(NEXT) | instid1(VALU_DEP_2)
	v_lshlrev_b32_e32 v25, 4, v2
	v_lshlrev_b32_e32 v52, 4, v10
	ds_load_b128 v[2:5], v25 offset:41984
	ds_load_b128 v[6:9], v25 offset:40960
	;; [unrolled: 1-line block ×4, first 2 shown]
	s_wait_dscnt 0x3
	v_mul_f64_e32 v[34:35], v[4:5], v[4:5]
	s_wait_dscnt 0x1
	v_mul_f64_e32 v[36:37], v[12:13], v[12:13]
	s_delay_alu instid0(VALU_DEP_2) | instskip(NEXT) | instid1(VALU_DEP_2)
	v_fmac_f64_e32 v[34:35], v[2:3], v[2:3]
	v_fmac_f64_e32 v[36:37], v[10:11], v[10:11]
	s_delay_alu instid0(VALU_DEP_2) | instskip(NEXT) | instid1(VALU_DEP_2)
	v_div_scale_f64 v[26:27], null, v[34:35], v[34:35], 1.0
	v_div_scale_f64 v[38:39], null, v[36:37], v[36:37], 1.0
	v_div_scale_f64 v[32:33], vcc_lo, 1.0, v[34:35], 1.0
	v_div_scale_f64 v[44:45], s3, 1.0, v[36:37], 1.0
	s_delay_alu instid0(VALU_DEP_4) | instskip(NEXT) | instid1(VALU_DEP_3)
	v_rcp_f64_e32 v[40:41], v[26:27]
	v_rcp_f64_e32 v[42:43], v[38:39]
	s_delay_alu instid0(TRANS32_DEP_2) | instskip(NEXT) | instid1(TRANS32_DEP_1)
	v_fma_f64 v[28:29], -v[26:27], v[40:41], 1.0
	v_fma_f64 v[30:31], -v[38:39], v[42:43], 1.0
	s_delay_alu instid0(VALU_DEP_2) | instskip(NEXT) | instid1(VALU_DEP_2)
	v_fmac_f64_e32 v[40:41], v[40:41], v[28:29]
	v_fmac_f64_e32 v[42:43], v[42:43], v[30:31]
	s_delay_alu instid0(VALU_DEP_2) | instskip(NEXT) | instid1(VALU_DEP_2)
	v_fma_f64 v[28:29], -v[26:27], v[40:41], 1.0
	v_fma_f64 v[30:31], -v[38:39], v[42:43], 1.0
	s_delay_alu instid0(VALU_DEP_2) | instskip(NEXT) | instid1(VALU_DEP_2)
	v_fmac_f64_e32 v[40:41], v[40:41], v[28:29]
	v_fmac_f64_e32 v[42:43], v[42:43], v[30:31]
	s_delay_alu instid0(VALU_DEP_2) | instskip(NEXT) | instid1(VALU_DEP_2)
	v_mul_f64_e32 v[46:47], v[32:33], v[40:41]
	v_mul_f64_e32 v[48:49], v[44:45], v[42:43]
	s_delay_alu instid0(VALU_DEP_2)
	v_fma_f64 v[50:51], -v[26:27], v[46:47], v[32:33]
	ds_load_b128 v[26:29], v23
	ds_load_b128 v[30:33], v21
	v_fma_f64 v[38:39], -v[38:39], v[48:49], v[44:45]
	s_wait_dscnt 0x1
	v_mul_f64_e64 v[44:45], v[4:5], -v[26:27]
	v_div_fmas_f64 v[40:41], v[50:51], v[40:41], v[46:47]
	s_mov_b32 vcc_lo, s3
	s_wait_dscnt 0x0
	v_mul_f64_e64 v[46:47], v[12:13], -v[30:31]
	s_delay_alu instid0(VALU_DEP_4)
	v_div_fmas_f64 v[38:39], v[38:39], v[42:43], v[48:49]
	v_mul_f64_e32 v[42:43], v[4:5], v[28:29]
	v_fmac_f64_e32 v[44:45], v[28:29], v[2:3]
	v_div_fixup_f64 v[34:35], v[40:41], v[34:35], 1.0
	v_mul_f64_e32 v[40:41], v[12:13], v[32:33]
	v_fmac_f64_e32 v[46:47], v[32:33], v[10:11]
	v_div_fixup_f64 v[36:37], v[38:39], v[36:37], 1.0
	v_fmac_f64_e32 v[42:43], v[26:27], v[2:3]
	ds_load_b128 v[2:5], v25 offset:43008
	ds_load_b128 v[26:29], v25 offset:45056
	v_mul_f64_e32 v[38:39], v[34:35], v[44:45]
	v_fmac_f64_e32 v[40:41], v[30:31], v[10:11]
	ds_load_b128 v[10:13], v52 offset:45088
	ds_load_b128 v[30:33], v52 offset:43040
	v_mul_f64_e32 v[44:45], v[36:37], v[46:47]
	v_mul_f64_e32 v[34:35], v[34:35], v[42:43]
	s_wait_dscnt 0x3
	v_mul_f64_e64 v[42:43], v[38:39], -v[4:5]
	v_mul_f64_e32 v[46:47], v[38:39], v[2:3]
	s_wait_dscnt 0x2
	v_mul_f64_e64 v[48:49], v[38:39], -v[28:29]
	v_mul_f64_e32 v[50:51], v[38:39], v[26:27]
	v_mul_f64_e32 v[36:37], v[36:37], v[40:41]
	v_mul_f64_e64 v[40:41], v[44:45], -v[16:17]
	v_mul_f64_e32 v[52:53], v[44:45], v[14:15]
	s_wait_dscnt 0x1
	v_mul_f64_e64 v[54:55], v[44:45], -v[12:13]
	v_mul_f64_e32 v[56:57], v[44:45], v[10:11]
	v_mul_f64_e32 v[58:59], v[38:39], v[8:9]
	v_mul_f64_e64 v[38:39], v[38:39], -v[6:7]
	s_wait_dscnt 0x0
	v_mul_f64_e32 v[60:61], v[44:45], v[32:33]
	v_fmac_f64_e32 v[42:43], v[2:3], v[34:35]
	v_fmac_f64_e32 v[46:47], v[4:5], v[34:35]
	;; [unrolled: 1-line block ×4, first 2 shown]
	ds_load_b128 v[2:5], v24
	ds_load_b128 v[26:29], v19
	v_fmac_f64_e32 v[40:41], v[14:15], v[36:37]
	v_fmac_f64_e32 v[52:53], v[16:17], v[36:37]
	;; [unrolled: 1-line block ×4, first 2 shown]
	s_wait_dscnt 0x1
	v_add_f64_e64 v[10:11], v[2:3], -v[42:43]
	v_add_f64_e64 v[12:13], v[4:5], -v[46:47]
	s_wait_dscnt 0x0
	v_add_f64_e64 v[14:15], v[26:27], -v[48:49]
	v_add_f64_e64 v[16:17], v[28:29], -v[50:51]
	v_mul_f64_e64 v[26:27], v[44:45], -v[30:31]
	v_fma_f64 v[2:3], -v[6:7], v[34:35], v[58:59]
	v_fma_f64 v[4:5], -v[8:9], v[34:35], v[38:39]
	;; [unrolled: 1-line block ×3, first 2 shown]
	v_add_f64_e64 v[10:11], v[10:11], -v[40:41]
	v_add_f64_e64 v[12:13], v[12:13], -v[52:53]
	;; [unrolled: 1-line block ×4, first 2 shown]
	v_fma_f64 v[8:9], -v[32:33], v[36:37], v[26:27]
.LBB71_14:
	s_or_b32 exec_lo, exec_lo, s4
	s_barrier_signal -1
	s_barrier_wait -1
	s_and_saveexec_b32 s3, s2
	s_cbranch_execz .LBB71_16
; %bb.15:
	ds_store_b128 v24, v[10:13]
	ds_store_b128 v19, v[14:17]
	;; [unrolled: 1-line block ×4, first 2 shown]
.LBB71_16:
	s_or_b32 exec_lo, exec_lo, s3
	s_wait_dscnt 0x0
	s_barrier_signal -1
	s_barrier_wait -1
	s_and_saveexec_b32 s4, s2
	s_cbranch_execz .LBB71_18
; %bb.17:
	v_sub_nc_u32_e64 v2, v0, 4 clamp
	v_min_u32_e32 v10, 59, v0
	s_delay_alu instid0(VALU_DEP_2) | instskip(NEXT) | instid1(VALU_DEP_2)
	v_lshlrev_b32_e32 v25, 4, v2
	v_lshlrev_b32_e32 v52, 4, v10
	ds_load_b128 v[2:5], v25 offset:41984
	ds_load_b128 v[6:9], v25 offset:40960
	;; [unrolled: 1-line block ×4, first 2 shown]
	s_wait_dscnt 0x3
	v_mul_f64_e32 v[34:35], v[4:5], v[4:5]
	s_wait_dscnt 0x1
	v_mul_f64_e32 v[36:37], v[12:13], v[12:13]
	s_delay_alu instid0(VALU_DEP_2) | instskip(NEXT) | instid1(VALU_DEP_2)
	v_fmac_f64_e32 v[34:35], v[2:3], v[2:3]
	v_fmac_f64_e32 v[36:37], v[10:11], v[10:11]
	s_delay_alu instid0(VALU_DEP_2) | instskip(NEXT) | instid1(VALU_DEP_2)
	v_div_scale_f64 v[26:27], null, v[34:35], v[34:35], 1.0
	v_div_scale_f64 v[38:39], null, v[36:37], v[36:37], 1.0
	v_div_scale_f64 v[32:33], vcc_lo, 1.0, v[34:35], 1.0
	v_div_scale_f64 v[44:45], s3, 1.0, v[36:37], 1.0
	s_delay_alu instid0(VALU_DEP_4) | instskip(NEXT) | instid1(VALU_DEP_3)
	v_rcp_f64_e32 v[40:41], v[26:27]
	v_rcp_f64_e32 v[42:43], v[38:39]
	s_delay_alu instid0(TRANS32_DEP_2) | instskip(NEXT) | instid1(TRANS32_DEP_1)
	v_fma_f64 v[28:29], -v[26:27], v[40:41], 1.0
	v_fma_f64 v[30:31], -v[38:39], v[42:43], 1.0
	s_delay_alu instid0(VALU_DEP_2) | instskip(NEXT) | instid1(VALU_DEP_2)
	v_fmac_f64_e32 v[40:41], v[40:41], v[28:29]
	v_fmac_f64_e32 v[42:43], v[42:43], v[30:31]
	s_delay_alu instid0(VALU_DEP_2) | instskip(NEXT) | instid1(VALU_DEP_2)
	v_fma_f64 v[28:29], -v[26:27], v[40:41], 1.0
	v_fma_f64 v[30:31], -v[38:39], v[42:43], 1.0
	s_delay_alu instid0(VALU_DEP_2) | instskip(NEXT) | instid1(VALU_DEP_2)
	v_fmac_f64_e32 v[40:41], v[40:41], v[28:29]
	v_fmac_f64_e32 v[42:43], v[42:43], v[30:31]
	s_delay_alu instid0(VALU_DEP_2) | instskip(NEXT) | instid1(VALU_DEP_2)
	v_mul_f64_e32 v[46:47], v[32:33], v[40:41]
	v_mul_f64_e32 v[48:49], v[44:45], v[42:43]
	s_delay_alu instid0(VALU_DEP_2)
	v_fma_f64 v[50:51], -v[26:27], v[46:47], v[32:33]
	ds_load_b128 v[26:29], v23
	ds_load_b128 v[30:33], v21
	v_fma_f64 v[38:39], -v[38:39], v[48:49], v[44:45]
	s_wait_dscnt 0x1
	v_mul_f64_e64 v[44:45], v[4:5], -v[26:27]
	v_div_fmas_f64 v[40:41], v[50:51], v[40:41], v[46:47]
	s_mov_b32 vcc_lo, s3
	s_wait_dscnt 0x0
	v_mul_f64_e64 v[46:47], v[12:13], -v[30:31]
	s_delay_alu instid0(VALU_DEP_4)
	v_div_fmas_f64 v[38:39], v[38:39], v[42:43], v[48:49]
	v_mul_f64_e32 v[42:43], v[4:5], v[28:29]
	v_fmac_f64_e32 v[44:45], v[28:29], v[2:3]
	v_div_fixup_f64 v[34:35], v[40:41], v[34:35], 1.0
	v_mul_f64_e32 v[40:41], v[12:13], v[32:33]
	v_fmac_f64_e32 v[46:47], v[32:33], v[10:11]
	v_div_fixup_f64 v[36:37], v[38:39], v[36:37], 1.0
	v_fmac_f64_e32 v[42:43], v[26:27], v[2:3]
	ds_load_b128 v[2:5], v25 offset:43008
	ds_load_b128 v[26:29], v25 offset:45056
	v_mul_f64_e32 v[38:39], v[34:35], v[44:45]
	v_fmac_f64_e32 v[40:41], v[30:31], v[10:11]
	ds_load_b128 v[10:13], v52 offset:45120
	ds_load_b128 v[30:33], v52 offset:43072
	v_mul_f64_e32 v[44:45], v[36:37], v[46:47]
	v_mul_f64_e32 v[34:35], v[34:35], v[42:43]
	s_wait_dscnt 0x3
	v_mul_f64_e64 v[42:43], v[38:39], -v[4:5]
	v_mul_f64_e32 v[46:47], v[38:39], v[2:3]
	s_wait_dscnt 0x2
	v_mul_f64_e64 v[48:49], v[38:39], -v[28:29]
	v_mul_f64_e32 v[50:51], v[38:39], v[26:27]
	v_mul_f64_e32 v[36:37], v[36:37], v[40:41]
	v_mul_f64_e64 v[40:41], v[44:45], -v[16:17]
	v_mul_f64_e32 v[52:53], v[44:45], v[14:15]
	s_wait_dscnt 0x1
	v_mul_f64_e64 v[54:55], v[44:45], -v[12:13]
	v_mul_f64_e32 v[56:57], v[44:45], v[10:11]
	v_mul_f64_e32 v[58:59], v[38:39], v[8:9]
	v_mul_f64_e64 v[38:39], v[38:39], -v[6:7]
	s_wait_dscnt 0x0
	v_mul_f64_e32 v[60:61], v[44:45], v[32:33]
	v_fmac_f64_e32 v[42:43], v[2:3], v[34:35]
	v_fmac_f64_e32 v[46:47], v[4:5], v[34:35]
	;; [unrolled: 1-line block ×4, first 2 shown]
	ds_load_b128 v[2:5], v24
	ds_load_b128 v[26:29], v19
	v_fmac_f64_e32 v[40:41], v[14:15], v[36:37]
	v_fmac_f64_e32 v[52:53], v[16:17], v[36:37]
	;; [unrolled: 1-line block ×4, first 2 shown]
	s_wait_dscnt 0x1
	v_add_f64_e64 v[10:11], v[2:3], -v[42:43]
	v_add_f64_e64 v[12:13], v[4:5], -v[46:47]
	s_wait_dscnt 0x0
	v_add_f64_e64 v[14:15], v[26:27], -v[48:49]
	v_add_f64_e64 v[16:17], v[28:29], -v[50:51]
	v_mul_f64_e64 v[26:27], v[44:45], -v[30:31]
	v_fma_f64 v[2:3], -v[6:7], v[34:35], v[58:59]
	v_fma_f64 v[4:5], -v[8:9], v[34:35], v[38:39]
	;; [unrolled: 1-line block ×3, first 2 shown]
	v_add_f64_e64 v[10:11], v[10:11], -v[40:41]
	v_add_f64_e64 v[12:13], v[12:13], -v[52:53]
	;; [unrolled: 1-line block ×4, first 2 shown]
	v_fma_f64 v[8:9], -v[32:33], v[36:37], v[26:27]
.LBB71_18:
	s_or_b32 exec_lo, exec_lo, s4
	s_barrier_signal -1
	s_barrier_wait -1
	s_and_saveexec_b32 s3, s2
	s_cbranch_execz .LBB71_20
; %bb.19:
	ds_store_b128 v24, v[10:13]
	ds_store_b128 v19, v[14:17]
	;; [unrolled: 1-line block ×4, first 2 shown]
.LBB71_20:
	s_or_b32 exec_lo, exec_lo, s3
	s_wait_dscnt 0x0
	s_barrier_signal -1
	s_barrier_wait -1
	s_and_saveexec_b32 s4, s2
	s_cbranch_execz .LBB71_22
; %bb.21:
	v_sub_nc_u32_e64 v2, v0, 8 clamp
	v_min_u32_e32 v10, 55, v0
	s_delay_alu instid0(VALU_DEP_2) | instskip(NEXT) | instid1(VALU_DEP_2)
	v_lshlrev_b32_e32 v25, 4, v2
	v_lshlrev_b32_e32 v52, 4, v10
	ds_load_b128 v[2:5], v25 offset:41984
	ds_load_b128 v[6:9], v25 offset:40960
	ds_load_b128 v[10:13], v52 offset:42112
	ds_load_b128 v[14:17], v52 offset:41088
	s_wait_dscnt 0x3
	v_mul_f64_e32 v[34:35], v[4:5], v[4:5]
	s_wait_dscnt 0x1
	v_mul_f64_e32 v[36:37], v[12:13], v[12:13]
	s_delay_alu instid0(VALU_DEP_2) | instskip(NEXT) | instid1(VALU_DEP_2)
	v_fmac_f64_e32 v[34:35], v[2:3], v[2:3]
	v_fmac_f64_e32 v[36:37], v[10:11], v[10:11]
	s_delay_alu instid0(VALU_DEP_2) | instskip(NEXT) | instid1(VALU_DEP_2)
	v_div_scale_f64 v[26:27], null, v[34:35], v[34:35], 1.0
	v_div_scale_f64 v[38:39], null, v[36:37], v[36:37], 1.0
	v_div_scale_f64 v[32:33], vcc_lo, 1.0, v[34:35], 1.0
	v_div_scale_f64 v[44:45], s3, 1.0, v[36:37], 1.0
	s_delay_alu instid0(VALU_DEP_4) | instskip(NEXT) | instid1(VALU_DEP_3)
	v_rcp_f64_e32 v[40:41], v[26:27]
	v_rcp_f64_e32 v[42:43], v[38:39]
	s_delay_alu instid0(TRANS32_DEP_2) | instskip(NEXT) | instid1(TRANS32_DEP_1)
	v_fma_f64 v[28:29], -v[26:27], v[40:41], 1.0
	v_fma_f64 v[30:31], -v[38:39], v[42:43], 1.0
	s_delay_alu instid0(VALU_DEP_2) | instskip(NEXT) | instid1(VALU_DEP_2)
	v_fmac_f64_e32 v[40:41], v[40:41], v[28:29]
	v_fmac_f64_e32 v[42:43], v[42:43], v[30:31]
	s_delay_alu instid0(VALU_DEP_2) | instskip(NEXT) | instid1(VALU_DEP_2)
	v_fma_f64 v[28:29], -v[26:27], v[40:41], 1.0
	v_fma_f64 v[30:31], -v[38:39], v[42:43], 1.0
	s_delay_alu instid0(VALU_DEP_2) | instskip(NEXT) | instid1(VALU_DEP_2)
	v_fmac_f64_e32 v[40:41], v[40:41], v[28:29]
	v_fmac_f64_e32 v[42:43], v[42:43], v[30:31]
	s_delay_alu instid0(VALU_DEP_2) | instskip(NEXT) | instid1(VALU_DEP_2)
	v_mul_f64_e32 v[46:47], v[32:33], v[40:41]
	v_mul_f64_e32 v[48:49], v[44:45], v[42:43]
	s_delay_alu instid0(VALU_DEP_2)
	v_fma_f64 v[50:51], -v[26:27], v[46:47], v[32:33]
	ds_load_b128 v[26:29], v23
	ds_load_b128 v[30:33], v21
	v_fma_f64 v[38:39], -v[38:39], v[48:49], v[44:45]
	s_wait_dscnt 0x1
	v_mul_f64_e64 v[44:45], v[4:5], -v[26:27]
	v_div_fmas_f64 v[40:41], v[50:51], v[40:41], v[46:47]
	s_mov_b32 vcc_lo, s3
	s_wait_dscnt 0x0
	v_mul_f64_e64 v[46:47], v[12:13], -v[30:31]
	s_delay_alu instid0(VALU_DEP_4)
	v_div_fmas_f64 v[38:39], v[38:39], v[42:43], v[48:49]
	v_mul_f64_e32 v[42:43], v[4:5], v[28:29]
	v_fmac_f64_e32 v[44:45], v[28:29], v[2:3]
	v_div_fixup_f64 v[34:35], v[40:41], v[34:35], 1.0
	v_mul_f64_e32 v[40:41], v[12:13], v[32:33]
	v_fmac_f64_e32 v[46:47], v[32:33], v[10:11]
	v_div_fixup_f64 v[36:37], v[38:39], v[36:37], 1.0
	v_fmac_f64_e32 v[42:43], v[26:27], v[2:3]
	ds_load_b128 v[2:5], v25 offset:43008
	ds_load_b128 v[26:29], v25 offset:45056
	v_mul_f64_e32 v[38:39], v[34:35], v[44:45]
	v_fmac_f64_e32 v[40:41], v[30:31], v[10:11]
	ds_load_b128 v[10:13], v52 offset:45184
	ds_load_b128 v[30:33], v52 offset:43136
	v_mul_f64_e32 v[44:45], v[36:37], v[46:47]
	v_mul_f64_e32 v[34:35], v[34:35], v[42:43]
	s_wait_dscnt 0x3
	v_mul_f64_e64 v[42:43], v[38:39], -v[4:5]
	v_mul_f64_e32 v[46:47], v[38:39], v[2:3]
	s_wait_dscnt 0x2
	v_mul_f64_e64 v[48:49], v[38:39], -v[28:29]
	v_mul_f64_e32 v[50:51], v[38:39], v[26:27]
	v_mul_f64_e32 v[36:37], v[36:37], v[40:41]
	v_mul_f64_e64 v[40:41], v[44:45], -v[16:17]
	v_mul_f64_e32 v[52:53], v[44:45], v[14:15]
	s_wait_dscnt 0x1
	v_mul_f64_e64 v[54:55], v[44:45], -v[12:13]
	v_mul_f64_e32 v[56:57], v[44:45], v[10:11]
	v_mul_f64_e32 v[58:59], v[38:39], v[8:9]
	v_mul_f64_e64 v[38:39], v[38:39], -v[6:7]
	s_wait_dscnt 0x0
	v_mul_f64_e32 v[60:61], v[44:45], v[32:33]
	v_fmac_f64_e32 v[42:43], v[2:3], v[34:35]
	v_fmac_f64_e32 v[46:47], v[4:5], v[34:35]
	;; [unrolled: 1-line block ×4, first 2 shown]
	ds_load_b128 v[2:5], v24
	ds_load_b128 v[26:29], v19
	v_fmac_f64_e32 v[40:41], v[14:15], v[36:37]
	v_fmac_f64_e32 v[52:53], v[16:17], v[36:37]
	;; [unrolled: 1-line block ×4, first 2 shown]
	s_wait_dscnt 0x1
	v_add_f64_e64 v[10:11], v[2:3], -v[42:43]
	v_add_f64_e64 v[12:13], v[4:5], -v[46:47]
	s_wait_dscnt 0x0
	v_add_f64_e64 v[14:15], v[26:27], -v[48:49]
	v_add_f64_e64 v[16:17], v[28:29], -v[50:51]
	v_mul_f64_e64 v[26:27], v[44:45], -v[30:31]
	v_fma_f64 v[2:3], -v[6:7], v[34:35], v[58:59]
	v_fma_f64 v[4:5], -v[8:9], v[34:35], v[38:39]
	;; [unrolled: 1-line block ×3, first 2 shown]
	v_add_f64_e64 v[10:11], v[10:11], -v[40:41]
	v_add_f64_e64 v[12:13], v[12:13], -v[52:53]
	;; [unrolled: 1-line block ×4, first 2 shown]
	v_fma_f64 v[8:9], -v[32:33], v[36:37], v[26:27]
.LBB71_22:
	s_or_b32 exec_lo, exec_lo, s4
	s_barrier_signal -1
	s_barrier_wait -1
	s_and_saveexec_b32 s3, s2
	s_cbranch_execz .LBB71_24
; %bb.23:
	ds_store_b128 v24, v[10:13]
	ds_store_b128 v19, v[14:17]
	;; [unrolled: 1-line block ×4, first 2 shown]
.LBB71_24:
	s_or_b32 exec_lo, exec_lo, s3
	s_wait_dscnt 0x0
	s_barrier_signal -1
	s_barrier_wait -1
	s_and_saveexec_b32 s4, s2
	s_cbranch_execz .LBB71_26
; %bb.25:
	v_sub_nc_u32_e64 v2, v0, 16 clamp
	v_min_u32_e32 v10, 47, v0
	s_delay_alu instid0(VALU_DEP_2) | instskip(NEXT) | instid1(VALU_DEP_2)
	v_lshlrev_b32_e32 v25, 4, v2
	v_lshlrev_b32_e32 v52, 4, v10
	ds_load_b128 v[2:5], v25 offset:41984
	ds_load_b128 v[6:9], v25 offset:40960
	;; [unrolled: 1-line block ×4, first 2 shown]
	s_wait_dscnt 0x3
	v_mul_f64_e32 v[34:35], v[4:5], v[4:5]
	s_wait_dscnt 0x1
	v_mul_f64_e32 v[36:37], v[12:13], v[12:13]
	s_delay_alu instid0(VALU_DEP_2) | instskip(NEXT) | instid1(VALU_DEP_2)
	v_fmac_f64_e32 v[34:35], v[2:3], v[2:3]
	v_fmac_f64_e32 v[36:37], v[10:11], v[10:11]
	s_delay_alu instid0(VALU_DEP_2) | instskip(NEXT) | instid1(VALU_DEP_2)
	v_div_scale_f64 v[26:27], null, v[34:35], v[34:35], 1.0
	v_div_scale_f64 v[38:39], null, v[36:37], v[36:37], 1.0
	v_div_scale_f64 v[32:33], vcc_lo, 1.0, v[34:35], 1.0
	v_div_scale_f64 v[44:45], s3, 1.0, v[36:37], 1.0
	s_delay_alu instid0(VALU_DEP_4) | instskip(NEXT) | instid1(VALU_DEP_3)
	v_rcp_f64_e32 v[40:41], v[26:27]
	v_rcp_f64_e32 v[42:43], v[38:39]
	s_delay_alu instid0(TRANS32_DEP_2) | instskip(NEXT) | instid1(TRANS32_DEP_1)
	v_fma_f64 v[28:29], -v[26:27], v[40:41], 1.0
	v_fma_f64 v[30:31], -v[38:39], v[42:43], 1.0
	s_delay_alu instid0(VALU_DEP_2) | instskip(NEXT) | instid1(VALU_DEP_2)
	v_fmac_f64_e32 v[40:41], v[40:41], v[28:29]
	v_fmac_f64_e32 v[42:43], v[42:43], v[30:31]
	s_delay_alu instid0(VALU_DEP_2) | instskip(NEXT) | instid1(VALU_DEP_2)
	v_fma_f64 v[28:29], -v[26:27], v[40:41], 1.0
	v_fma_f64 v[30:31], -v[38:39], v[42:43], 1.0
	s_delay_alu instid0(VALU_DEP_2) | instskip(NEXT) | instid1(VALU_DEP_2)
	v_fmac_f64_e32 v[40:41], v[40:41], v[28:29]
	v_fmac_f64_e32 v[42:43], v[42:43], v[30:31]
	s_delay_alu instid0(VALU_DEP_2) | instskip(NEXT) | instid1(VALU_DEP_2)
	v_mul_f64_e32 v[46:47], v[32:33], v[40:41]
	v_mul_f64_e32 v[48:49], v[44:45], v[42:43]
	s_delay_alu instid0(VALU_DEP_2)
	v_fma_f64 v[50:51], -v[26:27], v[46:47], v[32:33]
	ds_load_b128 v[26:29], v23
	ds_load_b128 v[30:33], v21
	v_fma_f64 v[38:39], -v[38:39], v[48:49], v[44:45]
	s_wait_dscnt 0x1
	v_mul_f64_e64 v[44:45], v[4:5], -v[26:27]
	v_div_fmas_f64 v[40:41], v[50:51], v[40:41], v[46:47]
	s_mov_b32 vcc_lo, s3
	s_wait_dscnt 0x0
	v_mul_f64_e64 v[46:47], v[12:13], -v[30:31]
	s_delay_alu instid0(VALU_DEP_4)
	v_div_fmas_f64 v[38:39], v[38:39], v[42:43], v[48:49]
	v_mul_f64_e32 v[42:43], v[4:5], v[28:29]
	v_fmac_f64_e32 v[44:45], v[28:29], v[2:3]
	v_div_fixup_f64 v[34:35], v[40:41], v[34:35], 1.0
	v_mul_f64_e32 v[40:41], v[12:13], v[32:33]
	v_fmac_f64_e32 v[46:47], v[32:33], v[10:11]
	v_div_fixup_f64 v[36:37], v[38:39], v[36:37], 1.0
	v_fmac_f64_e32 v[42:43], v[26:27], v[2:3]
	ds_load_b128 v[2:5], v25 offset:43008
	ds_load_b128 v[26:29], v25 offset:45056
	v_mul_f64_e32 v[38:39], v[34:35], v[44:45]
	v_fmac_f64_e32 v[40:41], v[30:31], v[10:11]
	ds_load_b128 v[10:13], v52 offset:45312
	ds_load_b128 v[30:33], v52 offset:43264
	v_mul_f64_e32 v[44:45], v[36:37], v[46:47]
	v_mul_f64_e32 v[34:35], v[34:35], v[42:43]
	s_wait_dscnt 0x3
	v_mul_f64_e64 v[42:43], v[38:39], -v[4:5]
	v_mul_f64_e32 v[46:47], v[38:39], v[2:3]
	s_wait_dscnt 0x2
	v_mul_f64_e64 v[48:49], v[38:39], -v[28:29]
	v_mul_f64_e32 v[50:51], v[38:39], v[26:27]
	v_mul_f64_e32 v[36:37], v[36:37], v[40:41]
	v_mul_f64_e64 v[40:41], v[44:45], -v[16:17]
	v_mul_f64_e32 v[52:53], v[44:45], v[14:15]
	s_wait_dscnt 0x1
	v_mul_f64_e64 v[54:55], v[44:45], -v[12:13]
	v_mul_f64_e32 v[56:57], v[44:45], v[10:11]
	v_mul_f64_e32 v[58:59], v[38:39], v[8:9]
	v_mul_f64_e64 v[38:39], v[38:39], -v[6:7]
	s_wait_dscnt 0x0
	v_mul_f64_e32 v[60:61], v[44:45], v[32:33]
	v_fmac_f64_e32 v[42:43], v[2:3], v[34:35]
	v_fmac_f64_e32 v[46:47], v[4:5], v[34:35]
	;; [unrolled: 1-line block ×4, first 2 shown]
	ds_load_b128 v[2:5], v24
	ds_load_b128 v[26:29], v19
	v_fmac_f64_e32 v[40:41], v[14:15], v[36:37]
	v_fmac_f64_e32 v[52:53], v[16:17], v[36:37]
	;; [unrolled: 1-line block ×4, first 2 shown]
	s_wait_dscnt 0x1
	v_add_f64_e64 v[10:11], v[2:3], -v[42:43]
	v_add_f64_e64 v[12:13], v[4:5], -v[46:47]
	s_wait_dscnt 0x0
	v_add_f64_e64 v[14:15], v[26:27], -v[48:49]
	v_add_f64_e64 v[16:17], v[28:29], -v[50:51]
	v_mul_f64_e64 v[26:27], v[44:45], -v[30:31]
	v_fma_f64 v[2:3], -v[6:7], v[34:35], v[58:59]
	v_fma_f64 v[4:5], -v[8:9], v[34:35], v[38:39]
	;; [unrolled: 1-line block ×3, first 2 shown]
	v_add_f64_e64 v[10:11], v[10:11], -v[40:41]
	v_add_f64_e64 v[12:13], v[12:13], -v[52:53]
	v_add_f64_e64 v[14:15], v[14:15], -v[54:55]
	v_add_f64_e64 v[16:17], v[16:17], -v[56:57]
	v_fma_f64 v[8:9], -v[32:33], v[36:37], v[26:27]
.LBB71_26:
	s_or_b32 exec_lo, exec_lo, s4
	s_barrier_signal -1
	s_barrier_wait -1
	s_and_saveexec_b32 s3, s2
	s_cbranch_execz .LBB71_28
; %bb.27:
	ds_store_b128 v24, v[10:13]
	ds_store_b128 v19, v[14:17]
	;; [unrolled: 1-line block ×4, first 2 shown]
.LBB71_28:
	s_or_b32 exec_lo, exec_lo, s3
	s_delay_alu instid0(SALU_CYCLE_1)
	s_mov_b32 s3, exec_lo
	s_wait_dscnt 0x0
	s_barrier_signal -1
	s_barrier_wait -1
	v_cmpx_gt_u32_e32 32, v0
	s_cbranch_execz .LBB71_30
; %bb.29:
	ds_load_b128 v[2:5], v24
	ds_load_b128 v[6:9], v24 offset:512
	ds_load_b128 v[10:13], v23 offset:512
	ds_load_b128 v[14:17], v21
	s_wait_dscnt 0x2
	v_mul_f64_e32 v[24:25], v[4:5], v[6:7]
	v_mul_f64_e64 v[28:29], v[4:5], -v[8:9]
	s_wait_dscnt 0x0
	v_mul_f64_e32 v[26:27], v[12:13], v[14:15]
	v_mul_f64_e64 v[30:31], v[12:13], -v[16:17]
	s_delay_alu instid0(VALU_DEP_4) | instskip(NEXT) | instid1(VALU_DEP_4)
	v_fmac_f64_e32 v[24:25], v[8:9], v[2:3]
	v_fmac_f64_e32 v[28:29], v[6:7], v[2:3]
	s_delay_alu instid0(VALU_DEP_4) | instskip(NEXT) | instid1(VALU_DEP_4)
	v_fmac_f64_e32 v[26:27], v[16:17], v[10:11]
	v_fmac_f64_e32 v[30:31], v[14:15], v[10:11]
	s_delay_alu instid0(VALU_DEP_2) | instskip(NEXT) | instid1(VALU_DEP_2)
	v_add_f64_e64 v[32:33], v[24:25], -v[26:27]
	v_add_f64_e64 v[34:35], v[28:29], -v[30:31]
	s_delay_alu instid0(VALU_DEP_2) | instskip(NEXT) | instid1(VALU_DEP_1)
	v_mul_f64_e32 v[36:37], v[32:33], v[32:33]
	v_fmac_f64_e32 v[36:37], v[34:35], v[34:35]
	s_delay_alu instid0(VALU_DEP_1) | instskip(SKIP_1) | instid1(VALU_DEP_2)
	v_div_scale_f64 v[24:25], null, v[36:37], v[36:37], 1.0
	v_div_scale_f64 v[28:29], vcc_lo, 1.0, v[36:37], 1.0
	v_rcp_f64_e32 v[38:39], v[24:25]
	v_nop
	s_delay_alu instid0(TRANS32_DEP_1) | instskip(NEXT) | instid1(VALU_DEP_1)
	v_fma_f64 v[26:27], -v[24:25], v[38:39], 1.0
	v_fmac_f64_e32 v[38:39], v[38:39], v[26:27]
	s_delay_alu instid0(VALU_DEP_1) | instskip(NEXT) | instid1(VALU_DEP_1)
	v_fma_f64 v[26:27], -v[24:25], v[38:39], 1.0
	v_fmac_f64_e32 v[38:39], v[38:39], v[26:27]
	s_delay_alu instid0(VALU_DEP_1) | instskip(NEXT) | instid1(VALU_DEP_1)
	v_mul_f64_e32 v[40:41], v[28:29], v[38:39]
	v_fma_f64 v[42:43], -v[24:25], v[40:41], v[28:29]
	ds_load_b128 v[24:27], v19
	ds_load_b128 v[28:31], v19 offset:512
	s_wait_dscnt 0x1
	v_mul_f64_e64 v[44:45], v[26:27], -v[8:9]
	v_mul_f64_e32 v[46:47], v[6:7], v[26:27]
	s_wait_dscnt 0x0
	v_mul_f64_e64 v[48:49], v[30:31], -v[16:17]
	v_mul_f64_e32 v[50:51], v[14:15], v[30:31]
	v_mul_f64_e64 v[52:53], v[4:5], -v[30:31]
	v_mul_f64_e32 v[4:5], v[4:5], v[28:29]
	v_div_fmas_f64 v[38:39], v[42:43], v[38:39], v[40:41]
	v_mul_f64_e32 v[40:41], v[12:13], v[24:25]
	v_mul_f64_e64 v[12:13], v[12:13], -v[26:27]
	v_fmac_f64_e32 v[44:45], v[6:7], v[24:25]
	v_fmac_f64_e32 v[46:47], v[8:9], v[24:25]
	;; [unrolled: 1-line block ×4, first 2 shown]
	v_fma_f64 v[6:7], v[34:35], 0, -v[32:33]
	v_fmac_f64_e32 v[52:53], v[28:29], v[2:3]
	v_fmac_f64_e32 v[4:5], v[30:31], v[2:3]
	v_fma_f64 v[2:3], 0, v[32:33], v[34:35]
	v_div_fixup_f64 v[8:9], v[38:39], v[36:37], 1.0
	v_fmac_f64_e32 v[40:41], v[26:27], v[10:11]
	v_fmac_f64_e32 v[12:13], v[24:25], v[10:11]
	v_add_f64_e64 v[16:17], v[44:45], -v[48:49]
	v_add_f64_e64 v[10:11], v[46:47], -v[50:51]
	v_mul_f64_e32 v[14:15], v[6:7], v[8:9]
	v_add_f64_e64 v[24:25], v[4:5], -v[40:41]
	v_add_f64_e64 v[12:13], v[52:53], -v[12:13]
	v_mul_f64_e32 v[26:27], v[2:3], v[8:9]
	s_delay_alu instid0(VALU_DEP_4) | instskip(SKIP_3) | instid1(VALU_DEP_4)
	v_mul_f64_e64 v[2:3], v[14:15], -v[10:11]
	v_mul_f64_e32 v[4:5], v[14:15], v[16:17]
	v_mul_f64_e64 v[6:7], v[14:15], -v[24:25]
	v_mul_f64_e32 v[8:9], v[14:15], v[12:13]
	v_fmac_f64_e32 v[2:3], v[16:17], v[26:27]
	s_delay_alu instid0(VALU_DEP_4) | instskip(NEXT) | instid1(VALU_DEP_4)
	v_fmac_f64_e32 v[4:5], v[10:11], v[26:27]
	v_fmac_f64_e32 v[6:7], v[12:13], v[26:27]
	s_delay_alu instid0(VALU_DEP_4)
	v_fmac_f64_e32 v[8:9], v[24:25], v[26:27]
	ds_store_b128 v22, v[2:5] offset:44032
	ds_store_b128 v22, v[6:9] offset:44544
.LBB71_30:
	s_or_b32 exec_lo, exec_lo, s3
	v_dual_ashrrev_i32 v19, 31, v18 :: v_dual_mov_b32 v21, 0
	s_wait_dscnt 0x0
	s_barrier_signal -1
	s_barrier_wait -1
	s_and_saveexec_b32 s3, s2
	s_cbranch_execz .LBB71_32
; %bb.31:
	ds_load_b128 v[2:5], v22 offset:44032
	s_wait_dscnt 0x0
	ds_store_b128 v1, v[2:5] offset:24560
.LBB71_32:
	s_or_b32 exec_lo, exec_lo, s3
	s_wait_dscnt 0x0
	s_barrier_signal -1
	s_barrier_wait -1
	s_and_saveexec_b32 s3, s2
	s_cbranch_execz .LBB71_38
; %bb.33:
	v_lshlrev_b32_e32 v1, 3, v0
	v_lshl_or_b32 v6, v0, 7, 0x8000
	s_mov_b32 s2, exec_lo
                                        ; implicit-def: $vgpr4_vgpr5
	s_delay_alu instid0(VALU_DEP_2)
	v_lshlrev_b32_e32 v1, 4, v1
	v_cmpx_ne_u32_e32 0, v0
	s_xor_b32 s2, exec_lo, s2
	s_cbranch_execz .LBB71_35
; %bb.34:
	ds_load_b128 v[2:5], v1 offset:8240
	s_wait_dscnt 0x0
	v_mul_f64_e32 v[28:29], v[4:5], v[4:5]
	s_delay_alu instid0(VALU_DEP_1) | instskip(NEXT) | instid1(VALU_DEP_1)
	v_fmac_f64_e32 v[28:29], v[2:3], v[2:3]
	v_div_scale_f64 v[30:31], null, v[28:29], v[28:29], 1.0
	s_delay_alu instid0(VALU_DEP_1) | instskip(SKIP_1) | instid1(TRANS32_DEP_1)
	v_rcp_f64_e32 v[32:33], v[30:31]
	v_nop
	v_fma_f64 v[8:9], -v[30:31], v[32:33], 1.0
	s_delay_alu instid0(VALU_DEP_1)
	v_fmac_f64_e32 v[32:33], v[32:33], v[8:9]
	ds_load_b128 v[8:11], v1 offset:48
	ds_load_b128 v[12:15], v1 offset:24560
	;; [unrolled: 1-line block ×3, first 2 shown]
	s_wait_dscnt 0x1
	v_mul_f64_e32 v[34:35], v[14:15], v[8:9]
	v_mul_f64_e64 v[38:39], v[14:15], -v[10:11]
	ds_load_b128 v[14:17], v1 offset:24688
	v_fma_f64 v[36:37], -v[30:31], v[32:33], 1.0
	v_fmac_f64_e32 v[34:35], v[10:11], v[12:13]
	v_div_scale_f64 v[10:11], vcc_lo, 1.0, v[28:29], 1.0
	v_fmac_f64_e32 v[38:39], v[8:9], v[12:13]
	ds_load_b128 v[6:9], v6 offset:48
	s_wait_dscnt 0x1
	v_mul_f64_e64 v[40:41], v[16:17], -v[26:27]
	v_mul_f64_e32 v[16:17], v[16:17], v[24:25]
	v_fmac_f64_e32 v[32:33], v[32:33], v[36:37]
	s_wait_dscnt 0x0
	v_add_f64_e64 v[8:9], v[8:9], -v[34:35]
	v_add_f64_e64 v[6:7], v[6:7], -v[38:39]
	v_fmac_f64_e32 v[40:41], v[24:25], v[14:15]
	v_fmac_f64_e32 v[16:17], v[26:27], v[14:15]
	v_mul_f64_e32 v[12:13], v[10:11], v[32:33]
	s_delay_alu instid0(VALU_DEP_3) | instskip(NEXT) | instid1(VALU_DEP_3)
	v_add_f64_e64 v[6:7], v[6:7], -v[40:41]
	v_add_f64_e64 v[8:9], v[8:9], -v[16:17]
	s_delay_alu instid0(VALU_DEP_3) | instskip(NEXT) | instid1(VALU_DEP_2)
	v_fma_f64 v[10:11], -v[30:31], v[12:13], v[10:11]
	v_mul_f64_e32 v[14:15], v[4:5], v[8:9]
	s_delay_alu instid0(VALU_DEP_4) | instskip(NEXT) | instid1(VALU_DEP_3)
	v_mul_f64_e64 v[4:5], v[4:5], -v[6:7]
	v_div_fmas_f64 v[10:11], v[10:11], v[32:33], v[12:13]
	s_delay_alu instid0(VALU_DEP_3) | instskip(NEXT) | instid1(VALU_DEP_3)
	v_fmac_f64_e32 v[14:15], v[6:7], v[2:3]
	v_fmac_f64_e32 v[4:5], v[8:9], v[2:3]
	s_delay_alu instid0(VALU_DEP_3) | instskip(NEXT) | instid1(VALU_DEP_1)
	v_div_fixup_f64 v[6:7], v[10:11], v[28:29], 1.0
	v_mul_f64_e32 v[2:3], v[14:15], v[6:7]
	s_delay_alu instid0(VALU_DEP_3)
	v_mul_f64_e32 v[4:5], v[6:7], v[4:5]
                                        ; implicit-def: $vgpr6
.LBB71_35:
	s_and_not1_saveexec_b32 s2, s2
	s_cbranch_execz .LBB71_37
; %bb.36:
	ds_load_b128 v[2:5], v1 offset:8240
	s_wait_dscnt 0x0
	v_mul_f64_e32 v[16:17], v[4:5], v[4:5]
	s_delay_alu instid0(VALU_DEP_1) | instskip(NEXT) | instid1(VALU_DEP_1)
	v_fmac_f64_e32 v[16:17], v[2:3], v[2:3]
	v_div_scale_f64 v[28:29], null, v[16:17], v[16:17], 1.0
	v_div_scale_f64 v[34:35], vcc_lo, 1.0, v[16:17], 1.0
	s_delay_alu instid0(VALU_DEP_2) | instskip(SKIP_1) | instid1(TRANS32_DEP_1)
	v_rcp_f64_e32 v[30:31], v[28:29]
	v_nop
	v_fma_f64 v[8:9], -v[28:29], v[30:31], 1.0
	s_delay_alu instid0(VALU_DEP_1)
	v_fmac_f64_e32 v[30:31], v[30:31], v[8:9]
	ds_load_b128 v[8:11], v1 offset:16432
	ds_load_b128 v[12:15], v1 offset:24688
	ds_load_b128 v[24:27], v6 offset:48
	s_wait_dscnt 0x1
	v_mul_f64_e32 v[6:7], v[14:15], v[8:9]
	v_mul_f64_e64 v[14:15], v[14:15], -v[10:11]
	v_fma_f64 v[32:33], -v[28:29], v[30:31], 1.0
	s_delay_alu instid0(VALU_DEP_3) | instskip(NEXT) | instid1(VALU_DEP_3)
	v_fmac_f64_e32 v[6:7], v[10:11], v[12:13]
	v_fmac_f64_e32 v[14:15], v[8:9], v[12:13]
	s_delay_alu instid0(VALU_DEP_3) | instskip(SKIP_1) | instid1(VALU_DEP_3)
	v_fmac_f64_e32 v[30:31], v[30:31], v[32:33]
	s_wait_dscnt 0x0
	v_add_f64_e64 v[6:7], v[26:27], -v[6:7]
	s_delay_alu instid0(VALU_DEP_3) | instskip(NEXT) | instid1(VALU_DEP_3)
	v_add_f64_e64 v[12:13], v[24:25], -v[14:15]
	v_mul_f64_e32 v[10:11], v[34:35], v[30:31]
	s_delay_alu instid0(VALU_DEP_3) | instskip(NEXT) | instid1(VALU_DEP_3)
	v_mul_f64_e32 v[14:15], v[6:7], v[4:5]
	v_mul_f64_e64 v[4:5], v[4:5], -v[12:13]
	s_delay_alu instid0(VALU_DEP_3) | instskip(NEXT) | instid1(VALU_DEP_3)
	v_fma_f64 v[8:9], -v[28:29], v[10:11], v[34:35]
	v_fmac_f64_e32 v[14:15], v[12:13], v[2:3]
	s_delay_alu instid0(VALU_DEP_3) | instskip(NEXT) | instid1(VALU_DEP_3)
	v_fmac_f64_e32 v[4:5], v[6:7], v[2:3]
	v_div_fmas_f64 v[8:9], v[8:9], v[30:31], v[10:11]
	s_delay_alu instid0(VALU_DEP_1) | instskip(NEXT) | instid1(VALU_DEP_1)
	v_div_fixup_f64 v[8:9], v[8:9], v[16:17], 1.0
	v_mul_f64_e32 v[2:3], v[14:15], v[8:9]
	s_delay_alu instid0(VALU_DEP_4)
	v_mul_f64_e32 v[4:5], v[4:5], v[8:9]
.LBB71_37:
	s_or_b32 exec_lo, exec_lo, s2
	ds_store_b128 v1, v[2:5] offset:24624
.LBB71_38:
	s_or_b32 exec_lo, exec_lo, s3
	v_lshl_add_u64 v[6:7], v[18:19], 4, s[10:11]
	v_lshl_add_u64 v[8:9], v[20:21], 4, s[10:11]
	s_wait_dscnt 0x0
	s_barrier_signal -1
	s_barrier_wait -1
	s_and_saveexec_b32 s2, s1
	s_cbranch_execz .LBB71_44
; %bb.39:
	v_lshlrev_b32_e32 v1, 2, v0
	v_lshl_or_b32 v10, v0, 6, 0x8000
	s_mov_b32 s1, exec_lo
                                        ; implicit-def: $vgpr4_vgpr5
	s_delay_alu instid0(VALU_DEP_2)
	v_lshlrev_b32_e32 v1, 4, v1
	v_cmpx_ne_u32_e32 0, v0
	s_xor_b32 s1, exec_lo, s1
	s_cbranch_execz .LBB71_41
; %bb.40:
	ds_load_b128 v[2:5], v1 offset:8208
	s_wait_dscnt 0x0
	v_mul_f64_e32 v[28:29], v[4:5], v[4:5]
	s_delay_alu instid0(VALU_DEP_1) | instskip(NEXT) | instid1(VALU_DEP_1)
	v_fmac_f64_e32 v[28:29], v[2:3], v[2:3]
	v_div_scale_f64 v[30:31], null, v[28:29], v[28:29], 1.0
	s_delay_alu instid0(VALU_DEP_1) | instskip(SKIP_1) | instid1(TRANS32_DEP_1)
	v_rcp_f64_e32 v[32:33], v[30:31]
	v_nop
	v_fma_f64 v[12:13], -v[30:31], v[32:33], 1.0
	s_delay_alu instid0(VALU_DEP_1)
	v_fmac_f64_e32 v[32:33], v[32:33], v[12:13]
	ds_load_b128 v[12:15], v1 offset:16
	ds_load_b128 v[16:19], v1 offset:24560
	ds_load_b128 v[24:27], v1 offset:16400
	s_wait_dscnt 0x1
	v_mul_f64_e32 v[34:35], v[18:19], v[12:13]
	v_mul_f64_e64 v[38:39], v[18:19], -v[14:15]
	ds_load_b128 v[18:21], v1 offset:24624
	v_fma_f64 v[36:37], -v[30:31], v[32:33], 1.0
	v_fmac_f64_e32 v[34:35], v[14:15], v[16:17]
	v_div_scale_f64 v[14:15], vcc_lo, 1.0, v[28:29], 1.0
	v_fmac_f64_e32 v[38:39], v[12:13], v[16:17]
	ds_load_b128 v[10:13], v10 offset:16
	s_wait_dscnt 0x1
	v_mul_f64_e64 v[40:41], v[20:21], -v[26:27]
	v_mul_f64_e32 v[20:21], v[20:21], v[24:25]
	v_fmac_f64_e32 v[32:33], v[32:33], v[36:37]
	s_wait_dscnt 0x0
	v_add_f64_e64 v[12:13], v[12:13], -v[34:35]
	v_add_f64_e64 v[10:11], v[10:11], -v[38:39]
	v_fmac_f64_e32 v[40:41], v[24:25], v[18:19]
	v_fmac_f64_e32 v[20:21], v[26:27], v[18:19]
	v_mul_f64_e32 v[16:17], v[14:15], v[32:33]
	s_delay_alu instid0(VALU_DEP_3) | instskip(NEXT) | instid1(VALU_DEP_3)
	v_add_f64_e64 v[10:11], v[10:11], -v[40:41]
	v_add_f64_e64 v[12:13], v[12:13], -v[20:21]
	s_delay_alu instid0(VALU_DEP_3) | instskip(NEXT) | instid1(VALU_DEP_2)
	v_fma_f64 v[14:15], -v[30:31], v[16:17], v[14:15]
	v_mul_f64_e32 v[18:19], v[4:5], v[12:13]
	s_delay_alu instid0(VALU_DEP_4) | instskip(NEXT) | instid1(VALU_DEP_3)
	v_mul_f64_e64 v[4:5], v[4:5], -v[10:11]
	v_div_fmas_f64 v[14:15], v[14:15], v[32:33], v[16:17]
	s_delay_alu instid0(VALU_DEP_3) | instskip(NEXT) | instid1(VALU_DEP_3)
	v_fmac_f64_e32 v[18:19], v[10:11], v[2:3]
	v_fmac_f64_e32 v[4:5], v[12:13], v[2:3]
	s_delay_alu instid0(VALU_DEP_3) | instskip(NEXT) | instid1(VALU_DEP_1)
	v_div_fixup_f64 v[10:11], v[14:15], v[28:29], 1.0
	v_mul_f64_e32 v[2:3], v[18:19], v[10:11]
	s_delay_alu instid0(VALU_DEP_3)
	v_mul_f64_e32 v[4:5], v[10:11], v[4:5]
                                        ; implicit-def: $vgpr10
.LBB71_41:
	s_and_not1_saveexec_b32 s1, s1
	s_cbranch_execz .LBB71_43
; %bb.42:
	ds_load_b128 v[2:5], v1 offset:8208
	s_wait_dscnt 0x0
	v_mul_f64_e32 v[20:21], v[4:5], v[4:5]
	s_delay_alu instid0(VALU_DEP_1) | instskip(NEXT) | instid1(VALU_DEP_1)
	v_fmac_f64_e32 v[20:21], v[2:3], v[2:3]
	v_div_scale_f64 v[28:29], null, v[20:21], v[20:21], 1.0
	v_div_scale_f64 v[34:35], vcc_lo, 1.0, v[20:21], 1.0
	s_delay_alu instid0(VALU_DEP_2) | instskip(SKIP_1) | instid1(TRANS32_DEP_1)
	v_rcp_f64_e32 v[30:31], v[28:29]
	v_nop
	v_fma_f64 v[12:13], -v[28:29], v[30:31], 1.0
	s_delay_alu instid0(VALU_DEP_1)
	v_fmac_f64_e32 v[30:31], v[30:31], v[12:13]
	ds_load_b128 v[12:15], v1 offset:16400
	ds_load_b128 v[16:19], v1 offset:24624
	ds_load_b128 v[24:27], v10 offset:16
	s_wait_dscnt 0x1
	v_mul_f64_e32 v[10:11], v[18:19], v[12:13]
	v_mul_f64_e64 v[18:19], v[18:19], -v[14:15]
	v_fma_f64 v[32:33], -v[28:29], v[30:31], 1.0
	s_delay_alu instid0(VALU_DEP_3) | instskip(NEXT) | instid1(VALU_DEP_3)
	v_fmac_f64_e32 v[10:11], v[14:15], v[16:17]
	v_fmac_f64_e32 v[18:19], v[12:13], v[16:17]
	s_delay_alu instid0(VALU_DEP_3) | instskip(SKIP_1) | instid1(VALU_DEP_3)
	v_fmac_f64_e32 v[30:31], v[30:31], v[32:33]
	s_wait_dscnt 0x0
	v_add_f64_e64 v[10:11], v[26:27], -v[10:11]
	s_delay_alu instid0(VALU_DEP_3) | instskip(NEXT) | instid1(VALU_DEP_3)
	v_add_f64_e64 v[16:17], v[24:25], -v[18:19]
	v_mul_f64_e32 v[14:15], v[34:35], v[30:31]
	s_delay_alu instid0(VALU_DEP_3) | instskip(NEXT) | instid1(VALU_DEP_3)
	v_mul_f64_e32 v[18:19], v[10:11], v[4:5]
	v_mul_f64_e64 v[4:5], v[4:5], -v[16:17]
	s_delay_alu instid0(VALU_DEP_3) | instskip(NEXT) | instid1(VALU_DEP_3)
	v_fma_f64 v[12:13], -v[28:29], v[14:15], v[34:35]
	v_fmac_f64_e32 v[18:19], v[16:17], v[2:3]
	s_delay_alu instid0(VALU_DEP_3) | instskip(NEXT) | instid1(VALU_DEP_3)
	v_fmac_f64_e32 v[4:5], v[10:11], v[2:3]
	v_div_fmas_f64 v[12:13], v[12:13], v[30:31], v[14:15]
	s_delay_alu instid0(VALU_DEP_1) | instskip(NEXT) | instid1(VALU_DEP_1)
	v_div_fixup_f64 v[12:13], v[12:13], v[20:21], 1.0
	v_mul_f64_e32 v[2:3], v[18:19], v[12:13]
	s_delay_alu instid0(VALU_DEP_4)
	v_mul_f64_e32 v[4:5], v[4:5], v[12:13]
.LBB71_43:
	s_or_b32 exec_lo, exec_lo, s1
	ds_store_b128 v1, v[2:5] offset:24592
.LBB71_44:
	s_or_b32 exec_lo, exec_lo, s2
	s_wait_dscnt 0x0
	s_barrier_signal -1
	s_barrier_wait -1
	s_and_saveexec_b32 s1, s0
	s_cbranch_execz .LBB71_50
; %bb.45:
	v_lshlrev_b32_e32 v1, 1, v0
	v_cmp_ne_u32_e32 vcc_lo, 0, v0
	v_lshl_or_b32 v5, v0, 5, 0x8000
	s_delay_alu instid0(VALU_DEP_3) | instskip(SKIP_1) | instid1(SALU_CYCLE_1)
	v_lshlrev_b32_e32 v4, 4, v1
                                        ; implicit-def: $vgpr2_vgpr3
	s_and_saveexec_b32 s0, vcc_lo
	s_xor_b32 s0, exec_lo, s0
	s_cbranch_execz .LBB71_47
; %bb.46:
	ds_load_b128 v[0:3], v4 offset:8192
	s_wait_dscnt 0x0
	v_mul_f64_e32 v[28:29], v[2:3], v[2:3]
	s_delay_alu instid0(VALU_DEP_1) | instskip(NEXT) | instid1(VALU_DEP_1)
	v_fmac_f64_e32 v[28:29], v[0:1], v[0:1]
	v_div_scale_f64 v[30:31], null, v[28:29], v[28:29], 1.0
	v_div_scale_f64 v[40:41], vcc_lo, 1.0, v[28:29], 1.0
	s_delay_alu instid0(VALU_DEP_2) | instskip(SKIP_1) | instid1(TRANS32_DEP_1)
	v_rcp_f64_e32 v[32:33], v[30:31]
	v_nop
	v_fma_f64 v[10:11], -v[30:31], v[32:33], 1.0
	s_delay_alu instid0(VALU_DEP_1)
	v_fmac_f64_e32 v[32:33], v[32:33], v[10:11]
	ds_load_b128 v[10:13], v4
	ds_load_b128 v[14:17], v4 offset:24560
	ds_load_b128 v[18:21], v4 offset:16384
	;; [unrolled: 1-line block ×3, first 2 shown]
	s_wait_dscnt 0x2
	v_mul_f64_e32 v[34:35], v[16:17], v[10:11]
	v_mul_f64_e64 v[16:17], v[16:17], -v[12:13]
	v_fma_f64 v[36:37], -v[30:31], v[32:33], 1.0
	s_delay_alu instid0(VALU_DEP_3) | instskip(NEXT) | instid1(VALU_DEP_3)
	v_fmac_f64_e32 v[34:35], v[12:13], v[14:15]
	v_fmac_f64_e32 v[16:17], v[10:11], v[14:15]
	ds_load_b128 v[10:13], v5
	s_wait_dscnt 0x1
	v_mul_f64_e64 v[38:39], v[26:27], -v[20:21]
	v_mul_f64_e32 v[26:27], v[26:27], v[18:19]
                                        ; implicit-def: $vgpr5
	v_fmac_f64_e32 v[32:33], v[32:33], v[36:37]
	s_wait_dscnt 0x0
	v_add_f64_e64 v[12:13], v[12:13], -v[34:35]
	v_add_f64_e64 v[10:11], v[10:11], -v[16:17]
	v_fmac_f64_e32 v[38:39], v[18:19], v[24:25]
	v_fmac_f64_e32 v[26:27], v[20:21], v[24:25]
	v_mul_f64_e32 v[14:15], v[40:41], v[32:33]
	s_delay_alu instid0(VALU_DEP_3) | instskip(NEXT) | instid1(VALU_DEP_3)
	v_add_f64_e64 v[10:11], v[10:11], -v[38:39]
	v_add_f64_e64 v[12:13], v[12:13], -v[26:27]
	s_delay_alu instid0(VALU_DEP_3) | instskip(NEXT) | instid1(VALU_DEP_2)
	v_fma_f64 v[16:17], -v[30:31], v[14:15], v[40:41]
	v_mul_f64_e32 v[18:19], v[2:3], v[12:13]
	s_delay_alu instid0(VALU_DEP_4) | instskip(NEXT) | instid1(VALU_DEP_3)
	v_mul_f64_e64 v[2:3], v[2:3], -v[10:11]
	v_div_fmas_f64 v[14:15], v[16:17], v[32:33], v[14:15]
	s_delay_alu instid0(VALU_DEP_3) | instskip(NEXT) | instid1(VALU_DEP_3)
	v_fmac_f64_e32 v[18:19], v[10:11], v[0:1]
	v_fmac_f64_e32 v[2:3], v[12:13], v[0:1]
	s_delay_alu instid0(VALU_DEP_3) | instskip(NEXT) | instid1(VALU_DEP_1)
	v_div_fixup_f64 v[10:11], v[14:15], v[28:29], 1.0
	v_mul_f64_e32 v[0:1], v[18:19], v[10:11]
	s_delay_alu instid0(VALU_DEP_3)
	v_mul_f64_e32 v[2:3], v[10:11], v[2:3]
.LBB71_47:
	s_and_not1_saveexec_b32 s0, s0
	s_cbranch_execz .LBB71_49
; %bb.48:
	ds_load_b128 v[0:3], v4 offset:8192
	s_wait_dscnt 0x0
	v_mul_f64_e32 v[24:25], v[2:3], v[2:3]
	s_delay_alu instid0(VALU_DEP_1) | instskip(NEXT) | instid1(VALU_DEP_1)
	v_fmac_f64_e32 v[24:25], v[0:1], v[0:1]
	v_div_scale_f64 v[26:27], null, v[24:25], v[24:25], 1.0
	v_div_scale_f64 v[34:35], vcc_lo, 1.0, v[24:25], 1.0
	s_delay_alu instid0(VALU_DEP_2) | instskip(SKIP_1) | instid1(TRANS32_DEP_1)
	v_rcp_f64_e32 v[28:29], v[26:27]
	v_nop
	v_fma_f64 v[10:11], -v[26:27], v[28:29], 1.0
	s_delay_alu instid0(VALU_DEP_1)
	v_fmac_f64_e32 v[28:29], v[28:29], v[10:11]
	ds_load_b128 v[10:13], v4 offset:16384
	ds_load_b128 v[14:17], v4 offset:24592
	ds_load_b128 v[18:21], v5
	s_wait_dscnt 0x1
	v_mul_f64_e32 v[32:33], v[16:17], v[10:11]
	v_mul_f64_e64 v[16:17], v[16:17], -v[12:13]
	v_fma_f64 v[30:31], -v[26:27], v[28:29], 1.0
	s_delay_alu instid0(VALU_DEP_3) | instskip(NEXT) | instid1(VALU_DEP_3)
	v_fmac_f64_e32 v[32:33], v[12:13], v[14:15]
	v_fmac_f64_e32 v[16:17], v[10:11], v[14:15]
	s_delay_alu instid0(VALU_DEP_3) | instskip(SKIP_1) | instid1(VALU_DEP_3)
	v_fmac_f64_e32 v[28:29], v[28:29], v[30:31]
	s_wait_dscnt 0x0
	v_add_f64_e64 v[10:11], v[20:21], -v[32:33]
	s_delay_alu instid0(VALU_DEP_3) | instskip(NEXT) | instid1(VALU_DEP_3)
	v_add_f64_e64 v[16:17], v[18:19], -v[16:17]
	v_mul_f64_e32 v[12:13], v[34:35], v[28:29]
	s_delay_alu instid0(VALU_DEP_3) | instskip(NEXT) | instid1(VALU_DEP_3)
	v_mul_f64_e32 v[18:19], v[10:11], v[2:3]
	v_mul_f64_e64 v[2:3], v[2:3], -v[16:17]
	s_delay_alu instid0(VALU_DEP_3) | instskip(NEXT) | instid1(VALU_DEP_3)
	v_fma_f64 v[14:15], -v[26:27], v[12:13], v[34:35]
	v_fmac_f64_e32 v[18:19], v[16:17], v[0:1]
	s_delay_alu instid0(VALU_DEP_3) | instskip(NEXT) | instid1(VALU_DEP_3)
	v_fmac_f64_e32 v[2:3], v[10:11], v[0:1]
	v_div_fmas_f64 v[12:13], v[14:15], v[28:29], v[12:13]
	s_delay_alu instid0(VALU_DEP_1) | instskip(NEXT) | instid1(VALU_DEP_1)
	v_div_fixup_f64 v[12:13], v[12:13], v[24:25], 1.0
	v_mul_f64_e32 v[0:1], v[18:19], v[12:13]
	s_delay_alu instid0(VALU_DEP_4)
	v_mul_f64_e32 v[2:3], v[2:3], v[12:13]
.LBB71_49:
	s_or_b32 exec_lo, exec_lo, s0
	ds_store_b128 v4, v[0:3] offset:24576
.LBB71_50:
	s_or_b32 exec_lo, exec_lo, s1
	v_or_b32_e32 v0, 0x6000, v22
	v_or_b32_e32 v4, 0x7000, v22
	s_wait_dscnt 0x0
	s_barrier_signal -1
	s_barrier_wait -1
	ds_load_2addr_b64 v[0:3], v0 offset1:1
	ds_load_2addr_b64 v[10:13], v4 offset1:1
	s_wait_dscnt 0x1
	global_store_b128 v[6:7], v[0:3], off
	s_wait_dscnt 0x0
	global_store_b128 v[8:9], v[10:13], off
	s_sendmsg sendmsg(MSG_DEALLOC_VGPRS)
	s_endpgm
	.section	.rodata,"a",@progbits
	.p2align	6, 0x0
	.amdhsa_kernel _ZN9rocsparseL51gtsv_nopivot_strided_batch_crpcr_pow2_shared_kernelILj256ELj64E21rocsparse_complex_numIdEEEviiiPKT1_S5_S5_PS3_
		.amdhsa_group_segment_fixed_size 46080
		.amdhsa_private_segment_fixed_size 0
		.amdhsa_kernarg_size 48
		.amdhsa_user_sgpr_count 2
		.amdhsa_user_sgpr_dispatch_ptr 0
		.amdhsa_user_sgpr_queue_ptr 0
		.amdhsa_user_sgpr_kernarg_segment_ptr 1
		.amdhsa_user_sgpr_dispatch_id 0
		.amdhsa_user_sgpr_kernarg_preload_length 0
		.amdhsa_user_sgpr_kernarg_preload_offset 0
		.amdhsa_user_sgpr_private_segment_size 0
		.amdhsa_wavefront_size32 1
		.amdhsa_uses_dynamic_stack 0
		.amdhsa_enable_private_segment 0
		.amdhsa_system_sgpr_workgroup_id_x 1
		.amdhsa_system_sgpr_workgroup_id_y 0
		.amdhsa_system_sgpr_workgroup_id_z 0
		.amdhsa_system_sgpr_workgroup_info 0
		.amdhsa_system_vgpr_workitem_id 0
		.amdhsa_next_free_vgpr 66
		.amdhsa_next_free_sgpr 14
		.amdhsa_named_barrier_count 0
		.amdhsa_reserve_vcc 1
		.amdhsa_float_round_mode_32 0
		.amdhsa_float_round_mode_16_64 0
		.amdhsa_float_denorm_mode_32 3
		.amdhsa_float_denorm_mode_16_64 3
		.amdhsa_fp16_overflow 0
		.amdhsa_memory_ordered 1
		.amdhsa_forward_progress 1
		.amdhsa_inst_pref_size 67
		.amdhsa_round_robin_scheduling 0
		.amdhsa_exception_fp_ieee_invalid_op 0
		.amdhsa_exception_fp_denorm_src 0
		.amdhsa_exception_fp_ieee_div_zero 0
		.amdhsa_exception_fp_ieee_overflow 0
		.amdhsa_exception_fp_ieee_underflow 0
		.amdhsa_exception_fp_ieee_inexact 0
		.amdhsa_exception_int_div_zero 0
	.end_amdhsa_kernel
	.section	.text._ZN9rocsparseL51gtsv_nopivot_strided_batch_crpcr_pow2_shared_kernelILj256ELj64E21rocsparse_complex_numIdEEEviiiPKT1_S5_S5_PS3_,"axG",@progbits,_ZN9rocsparseL51gtsv_nopivot_strided_batch_crpcr_pow2_shared_kernelILj256ELj64E21rocsparse_complex_numIdEEEviiiPKT1_S5_S5_PS3_,comdat
.Lfunc_end71:
	.size	_ZN9rocsparseL51gtsv_nopivot_strided_batch_crpcr_pow2_shared_kernelILj256ELj64E21rocsparse_complex_numIdEEEviiiPKT1_S5_S5_PS3_, .Lfunc_end71-_ZN9rocsparseL51gtsv_nopivot_strided_batch_crpcr_pow2_shared_kernelILj256ELj64E21rocsparse_complex_numIdEEEviiiPKT1_S5_S5_PS3_
                                        ; -- End function
	.set _ZN9rocsparseL51gtsv_nopivot_strided_batch_crpcr_pow2_shared_kernelILj256ELj64E21rocsparse_complex_numIdEEEviiiPKT1_S5_S5_PS3_.num_vgpr, 66
	.set _ZN9rocsparseL51gtsv_nopivot_strided_batch_crpcr_pow2_shared_kernelILj256ELj64E21rocsparse_complex_numIdEEEviiiPKT1_S5_S5_PS3_.num_agpr, 0
	.set _ZN9rocsparseL51gtsv_nopivot_strided_batch_crpcr_pow2_shared_kernelILj256ELj64E21rocsparse_complex_numIdEEEviiiPKT1_S5_S5_PS3_.numbered_sgpr, 14
	.set _ZN9rocsparseL51gtsv_nopivot_strided_batch_crpcr_pow2_shared_kernelILj256ELj64E21rocsparse_complex_numIdEEEviiiPKT1_S5_S5_PS3_.num_named_barrier, 0
	.set _ZN9rocsparseL51gtsv_nopivot_strided_batch_crpcr_pow2_shared_kernelILj256ELj64E21rocsparse_complex_numIdEEEviiiPKT1_S5_S5_PS3_.private_seg_size, 0
	.set _ZN9rocsparseL51gtsv_nopivot_strided_batch_crpcr_pow2_shared_kernelILj256ELj64E21rocsparse_complex_numIdEEEviiiPKT1_S5_S5_PS3_.uses_vcc, 1
	.set _ZN9rocsparseL51gtsv_nopivot_strided_batch_crpcr_pow2_shared_kernelILj256ELj64E21rocsparse_complex_numIdEEEviiiPKT1_S5_S5_PS3_.uses_flat_scratch, 0
	.set _ZN9rocsparseL51gtsv_nopivot_strided_batch_crpcr_pow2_shared_kernelILj256ELj64E21rocsparse_complex_numIdEEEviiiPKT1_S5_S5_PS3_.has_dyn_sized_stack, 0
	.set _ZN9rocsparseL51gtsv_nopivot_strided_batch_crpcr_pow2_shared_kernelILj256ELj64E21rocsparse_complex_numIdEEEviiiPKT1_S5_S5_PS3_.has_recursion, 0
	.set _ZN9rocsparseL51gtsv_nopivot_strided_batch_crpcr_pow2_shared_kernelILj256ELj64E21rocsparse_complex_numIdEEEviiiPKT1_S5_S5_PS3_.has_indirect_call, 0
	.section	.AMDGPU.csdata,"",@progbits
; Kernel info:
; codeLenInByte = 8496
; TotalNumSgprs: 16
; NumVgprs: 66
; ScratchSize: 0
; MemoryBound: 0
; FloatMode: 240
; IeeeMode: 1
; LDSByteSize: 46080 bytes/workgroup (compile time only)
; SGPRBlocks: 0
; VGPRBlocks: 4
; NumSGPRsForWavesPerEU: 16
; NumVGPRsForWavesPerEU: 66
; NamedBarCnt: 0
; Occupancy: 12
; WaveLimiterHint : 0
; COMPUTE_PGM_RSRC2:SCRATCH_EN: 0
; COMPUTE_PGM_RSRC2:USER_SGPR: 2
; COMPUTE_PGM_RSRC2:TRAP_HANDLER: 0
; COMPUTE_PGM_RSRC2:TGID_X_EN: 1
; COMPUTE_PGM_RSRC2:TGID_Y_EN: 0
; COMPUTE_PGM_RSRC2:TGID_Z_EN: 0
; COMPUTE_PGM_RSRC2:TIDIG_COMP_CNT: 0
	.section	.text._ZN9rocsparseL44gtsv_nopivot_strided_batch_pcr_shared_kernelILj4E21rocsparse_complex_numIdEEEviiiPKT0_S5_S5_PS3_,"axG",@progbits,_ZN9rocsparseL44gtsv_nopivot_strided_batch_pcr_shared_kernelILj4E21rocsparse_complex_numIdEEEviiiPKT0_S5_S5_PS3_,comdat
	.globl	_ZN9rocsparseL44gtsv_nopivot_strided_batch_pcr_shared_kernelILj4E21rocsparse_complex_numIdEEEviiiPKT0_S5_S5_PS3_ ; -- Begin function _ZN9rocsparseL44gtsv_nopivot_strided_batch_pcr_shared_kernelILj4E21rocsparse_complex_numIdEEEviiiPKT0_S5_S5_PS3_
	.p2align	8
	.type	_ZN9rocsparseL44gtsv_nopivot_strided_batch_pcr_shared_kernelILj4E21rocsparse_complex_numIdEEEviiiPKT0_S5_S5_PS3_,@function
_ZN9rocsparseL44gtsv_nopivot_strided_batch_pcr_shared_kernelILj4E21rocsparse_complex_numIdEEEviiiPKT0_S5_S5_PS3_: ; @_ZN9rocsparseL44gtsv_nopivot_strided_batch_pcr_shared_kernelILj4E21rocsparse_complex_numIdEEEviiiPKT0_S5_S5_PS3_
; %bb.0:
	s_clause 0x1
	s_load_b32 s2, s[0:1], 0x8
	s_load_b32 s3, s[0:1], 0x0
	s_bfe_u32 s4, ttmp6, 0x4000c
	s_and_b32 s5, ttmp6, 15
	s_add_co_i32 s4, s4, 1
	s_getreg_b32 s6, hwreg(HW_REG_IB_STS2, 6, 4)
	s_mul_i32 s4, ttmp9, s4
	v_mov_b64_e32 v[4:5], 0
	s_add_co_i32 s5, s5, s4
	s_cmp_eq_u32 s6, 0
	v_mov_b64_e32 v[8:9], 0
	s_cselect_b32 s4, ttmp9, s5
	v_mov_b64_e32 v[10:11], 0
	s_wait_kmcnt 0x0
	v_mad_u32 v1, s2, s4, v0
	v_cmp_gt_i32_e64 s2, s3, v0
	s_and_saveexec_b32 s4, s2
	s_cbranch_execz .LBB72_2
; %bb.1:
	s_load_b64 s[6:7], s[0:1], 0x10
	s_wait_kmcnt 0x0
	global_load_b128 v[8:11], v1, s[6:7] scale_offset
.LBB72_2:
	s_wait_xcnt 0x0
	s_or_b32 exec_lo, exec_lo, s4
	v_mov_b64_e32 v[6:7], 0
	v_lshlrev_b32_e32 v12, 4, v0
	s_wait_loadcnt 0x0
	ds_store_b128 v12, v[8:11]
	s_and_saveexec_b32 s4, s2
	s_cbranch_execz .LBB72_4
; %bb.3:
	s_load_b64 s[6:7], s[0:1], 0x18
	s_wait_kmcnt 0x0
	global_load_b128 v[4:7], v1, s[6:7] scale_offset
.LBB72_4:
	s_wait_xcnt 0x0
	s_or_b32 exec_lo, exec_lo, s4
	s_load_b64 s[4:5], s[0:1], 0x28
	v_mov_b64_e32 v[2:3], 0
	v_mov_b64_e32 v[8:9], 0
	;; [unrolled: 1-line block ×3, first 2 shown]
	s_wait_loadcnt 0x0
	ds_store_b128 v12, v[4:7] offset:64
	s_and_saveexec_b32 s6, s2
	s_cbranch_execz .LBB72_6
; %bb.5:
	s_wait_xcnt 0x0
	s_load_b64 s[0:1], s[0:1], 0x20
	s_wait_kmcnt 0x0
	global_load_b128 v[8:11], v1, s[0:1] scale_offset
.LBB72_6:
	s_wait_xcnt 0x0
	s_or_b32 exec_lo, exec_lo, s6
	v_mov_b64_e32 v[4:5], 0
	v_or_b32_e32 v7, 64, v12
	v_or_b32_e32 v6, 0x80, v12
	s_wait_loadcnt 0x0
	ds_store_b128 v12, v[8:11] offset:128
	s_and_saveexec_b32 s0, s2
	s_cbranch_execz .LBB72_8
; %bb.7:
	s_wait_kmcnt 0x0
	global_load_b128 v[2:5], v1, s[4:5] scale_offset
.LBB72_8:
	s_wait_xcnt 0x0
	s_or_b32 exec_lo, exec_lo, s0
	v_sub_nc_u32_e64 v8, v0, 1 clamp
	s_add_co_i32 s0, s3, -1
	s_wait_loadcnt 0x0
	ds_store_b128 v12, v[2:5] offset:256
	v_add_min_i32_e64 v14, v0, 1, s0
	s_wait_dscnt 0x0
	v_lshlrev_b32_e32 v13, 4, v8
	; wave barrier
	s_delay_alu instid0(VALU_DEP_2)
	v_lshlrev_b32_e32 v56, 4, v14
	ds_load_b128 v[2:5], v13 offset:64
	ds_load_b128 v[8:11], v13
	ds_load_b128 v[14:17], v56 offset:64
	ds_load_b128 v[18:21], v56
	s_wait_dscnt 0x3
	v_mul_f64_e32 v[38:39], v[4:5], v[4:5]
	s_wait_dscnt 0x1
	v_mul_f64_e32 v[40:41], v[16:17], v[16:17]
	s_delay_alu instid0(VALU_DEP_2) | instskip(NEXT) | instid1(VALU_DEP_2)
	v_fmac_f64_e32 v[38:39], v[2:3], v[2:3]
	v_fmac_f64_e32 v[40:41], v[14:15], v[14:15]
	s_delay_alu instid0(VALU_DEP_2) | instskip(NEXT) | instid1(VALU_DEP_2)
	v_div_scale_f64 v[22:23], null, v[38:39], v[38:39], 1.0
	v_div_scale_f64 v[30:31], null, v[40:41], v[40:41], 1.0
	v_div_scale_f64 v[28:29], vcc_lo, 1.0, v[38:39], 1.0
	v_div_scale_f64 v[34:35], s0, 1.0, v[40:41], 1.0
	s_delay_alu instid0(VALU_DEP_4) | instskip(NEXT) | instid1(VALU_DEP_3)
	v_rcp_f64_e32 v[32:33], v[22:23]
	v_rcp_f64_e32 v[42:43], v[30:31]
	s_delay_alu instid0(TRANS32_DEP_2) | instskip(NEXT) | instid1(TRANS32_DEP_1)
	v_fma_f64 v[24:25], -v[22:23], v[32:33], 1.0
	v_fma_f64 v[26:27], -v[30:31], v[42:43], 1.0
	s_delay_alu instid0(VALU_DEP_2) | instskip(NEXT) | instid1(VALU_DEP_2)
	v_fmac_f64_e32 v[32:33], v[32:33], v[24:25]
	v_fmac_f64_e32 v[42:43], v[42:43], v[26:27]
	s_delay_alu instid0(VALU_DEP_2) | instskip(NEXT) | instid1(VALU_DEP_2)
	v_fma_f64 v[24:25], -v[22:23], v[32:33], 1.0
	v_fma_f64 v[26:27], -v[30:31], v[42:43], 1.0
	s_delay_alu instid0(VALU_DEP_2) | instskip(NEXT) | instid1(VALU_DEP_2)
	v_fmac_f64_e32 v[32:33], v[32:33], v[24:25]
	v_fmac_f64_e32 v[42:43], v[42:43], v[26:27]
	s_delay_alu instid0(VALU_DEP_2) | instskip(NEXT) | instid1(VALU_DEP_2)
	v_mul_f64_e32 v[36:37], v[28:29], v[32:33]
	v_mul_f64_e32 v[44:45], v[34:35], v[42:43]
	s_delay_alu instid0(VALU_DEP_2)
	v_fma_f64 v[46:47], -v[22:23], v[36:37], v[28:29]
	ds_load_b128 v[22:25], v12
	ds_load_b128 v[26:29], v12 offset:256
	v_fma_f64 v[48:49], -v[30:31], v[44:45], v[34:35]
	s_wait_dscnt 0x1
	v_mul_f64_e64 v[50:51], v[4:5], -v[22:23]
	v_div_fmas_f64 v[46:47], v[46:47], v[32:33], v[36:37]
	ds_load_b128 v[30:33], v6
	ds_load_b128 v[34:37], v7
	s_mov_b32 vcc_lo, s0
	s_mov_b32 s0, exec_lo
	v_div_fmas_f64 v[42:43], v[48:49], v[42:43], v[44:45]
	v_mul_f64_e32 v[44:45], v[4:5], v[24:25]
	s_wait_dscnt 0x1
	v_mul_f64_e64 v[52:53], v[16:17], -v[30:31]
	v_fmac_f64_e32 v[50:51], v[24:25], v[2:3]
	v_div_fixup_f64 v[38:39], v[46:47], v[38:39], 1.0
	v_mul_f64_e32 v[46:47], v[16:17], v[32:33]
	v_div_fixup_f64 v[40:41], v[42:43], v[40:41], 1.0
	v_fmac_f64_e32 v[44:45], v[22:23], v[2:3]
	ds_load_b128 v[2:5], v13 offset:256
	ds_load_b128 v[22:25], v13 offset:128
	v_fmac_f64_e32 v[52:53], v[32:33], v[14:15]
	v_mul_f64_e32 v[42:43], v[38:39], v[50:51]
	v_fmac_f64_e32 v[46:47], v[30:31], v[14:15]
	ds_load_b128 v[14:17], v56 offset:256
	ds_load_b128 v[30:33], v56 offset:128
	s_wait_dscnt 0x0
	; wave barrier
	v_mul_f64_e32 v[38:39], v[38:39], v[44:45]
	v_mul_f64_e32 v[48:49], v[40:41], v[52:53]
	v_mul_f64_e64 v[44:45], v[42:43], -v[4:5]
	v_mul_f64_e32 v[50:51], v[42:43], v[2:3]
	v_mul_f64_e64 v[52:53], v[42:43], -v[24:25]
	v_mul_f64_e32 v[54:55], v[42:43], v[22:23]
	v_mul_f64_e32 v[40:41], v[40:41], v[46:47]
	v_mul_f64_e64 v[58:59], v[48:49], -v[16:17]
	v_mul_f64_e32 v[60:61], v[48:49], v[14:15]
	v_mul_f64_e64 v[46:47], v[48:49], -v[20:21]
	v_mul_f64_e32 v[56:57], v[48:49], v[18:19]
	v_fmac_f64_e32 v[44:45], v[2:3], v[38:39]
	v_fmac_f64_e32 v[50:51], v[4:5], v[38:39]
	;; [unrolled: 1-line block ×4, first 2 shown]
	v_mul_f64_e32 v[2:3], v[42:43], v[10:11]
	v_mul_f64_e64 v[4:5], v[42:43], -v[8:9]
	v_mul_f64_e32 v[22:23], v[48:49], v[32:33]
	v_mul_f64_e64 v[24:25], v[48:49], -v[30:31]
	v_fmac_f64_e32 v[58:59], v[14:15], v[40:41]
	v_fmac_f64_e32 v[60:61], v[16:17], v[40:41]
	;; [unrolled: 1-line block ×4, first 2 shown]
	v_add_f64_e64 v[14:15], v[26:27], -v[44:45]
	v_add_f64_e64 v[16:17], v[28:29], -v[50:51]
	;; [unrolled: 1-line block ×4, first 2 shown]
	v_fma_f64 v[2:3], -v[8:9], v[38:39], v[2:3]
	v_fma_f64 v[4:5], -v[10:11], v[38:39], v[4:5]
	;; [unrolled: 1-line block ×4, first 2 shown]
	v_add_f64_e64 v[14:15], v[14:15], -v[58:59]
	v_add_f64_e64 v[16:17], v[16:17], -v[60:61]
	;; [unrolled: 1-line block ×4, first 2 shown]
	ds_store_b128 v12, v[14:17] offset:256
	ds_store_b128 v12, v[2:5]
	ds_store_b128 v7, v[18:21]
	;; [unrolled: 1-line block ×3, first 2 shown]
	s_wait_dscnt 0x0
	; wave barrier
	v_cmpx_gt_u32_e32 2, v0
	s_cbranch_execz .LBB72_14
; %bb.9:
	v_or_b32_e32 v8, 2, v0
	v_or_b32_e32 v9, 0x100, v12
	s_mov_b32 s1, exec_lo
                                        ; implicit-def: $vgpr4_vgpr5
	s_delay_alu instid0(VALU_DEP_2)
	v_cmpx_le_i32_e64 s3, v8
	s_xor_b32 s1, exec_lo, s1
	s_cbranch_execz .LBB72_11
; %bb.10:
	ds_load_b128 v[2:5], v7
	ds_load_b128 v[6:9], v9
	s_wait_dscnt 0x1
	v_mul_f64_e32 v[10:11], v[4:5], v[4:5]
	s_delay_alu instid0(VALU_DEP_1) | instskip(NEXT) | instid1(VALU_DEP_1)
	v_fmac_f64_e32 v[10:11], v[2:3], v[2:3]
	v_div_scale_f64 v[14:15], null, v[10:11], v[10:11], 1.0
	v_div_scale_f64 v[20:21], vcc_lo, 1.0, v[10:11], 1.0
	s_delay_alu instid0(VALU_DEP_2) | instskip(SKIP_1) | instid1(TRANS32_DEP_1)
	v_rcp_f64_e32 v[16:17], v[14:15]
	v_nop
	v_fma_f64 v[18:19], -v[14:15], v[16:17], 1.0
	s_delay_alu instid0(VALU_DEP_1) | instskip(NEXT) | instid1(VALU_DEP_1)
	v_fmac_f64_e32 v[16:17], v[16:17], v[18:19]
	v_fma_f64 v[18:19], -v[14:15], v[16:17], 1.0
	s_delay_alu instid0(VALU_DEP_1) | instskip(NEXT) | instid1(VALU_DEP_1)
	v_fmac_f64_e32 v[16:17], v[16:17], v[18:19]
	v_mul_f64_e32 v[18:19], v[20:21], v[16:17]
	s_delay_alu instid0(VALU_DEP_1) | instskip(SKIP_3) | instid1(VALU_DEP_3)
	v_fma_f64 v[14:15], -v[14:15], v[18:19], v[20:21]
	s_wait_dscnt 0x0
	v_mul_f64_e32 v[20:21], v[4:5], v[8:9]
	v_mul_f64_e64 v[4:5], v[4:5], -v[6:7]
	v_div_fmas_f64 v[14:15], v[14:15], v[16:17], v[18:19]
	s_delay_alu instid0(VALU_DEP_3) | instskip(NEXT) | instid1(VALU_DEP_3)
	v_fmac_f64_e32 v[20:21], v[6:7], v[2:3]
	v_fmac_f64_e32 v[4:5], v[8:9], v[2:3]
                                        ; implicit-def: $vgpr9
                                        ; implicit-def: $vgpr8
	s_delay_alu instid0(VALU_DEP_3) | instskip(NEXT) | instid1(VALU_DEP_1)
	v_div_fixup_f64 v[6:7], v[14:15], v[10:11], 1.0
	v_mul_f64_e32 v[2:3], v[6:7], v[20:21]
	s_delay_alu instid0(VALU_DEP_3)
	v_mul_f64_e32 v[4:5], v[6:7], v[4:5]
                                        ; implicit-def: $vgpr7
                                        ; implicit-def: $vgpr6
.LBB72_11:
	s_and_not1_saveexec_b32 s1, s1
	s_cbranch_execz .LBB72_13
; %bb.12:
	ds_load_b128 v[2:5], v7
	ds_load_b128 v[14:17], v12 offset:32
	ds_load_b128 v[18:21], v7 offset:32
	ds_load_b128 v[22:25], v6
	v_mov_b32_e32 v0, v8
	s_wait_dscnt 0x1
	v_mul_f64_e32 v[6:7], v[4:5], v[18:19]
	s_wait_dscnt 0x0
	v_mul_f64_e32 v[10:11], v[16:17], v[22:23]
	v_mul_f64_e64 v[26:27], v[4:5], -v[20:21]
	v_mul_f64_e64 v[28:29], v[16:17], -v[24:25]
	s_delay_alu instid0(VALU_DEP_4) | instskip(NEXT) | instid1(VALU_DEP_4)
	v_fmac_f64_e32 v[6:7], v[20:21], v[2:3]
	v_fmac_f64_e32 v[10:11], v[24:25], v[14:15]
	s_delay_alu instid0(VALU_DEP_4) | instskip(NEXT) | instid1(VALU_DEP_4)
	v_fmac_f64_e32 v[26:27], v[18:19], v[2:3]
	v_fmac_f64_e32 v[28:29], v[22:23], v[14:15]
	s_delay_alu instid0(VALU_DEP_3) | instskip(NEXT) | instid1(VALU_DEP_2)
	v_add_f64_e64 v[6:7], v[6:7], -v[10:11]
	v_add_f64_e64 v[10:11], v[26:27], -v[28:29]
	s_delay_alu instid0(VALU_DEP_2) | instskip(NEXT) | instid1(VALU_DEP_1)
	v_mul_f64_e32 v[34:35], v[6:7], v[6:7]
	v_fmac_f64_e32 v[34:35], v[10:11], v[10:11]
	s_delay_alu instid0(VALU_DEP_1) | instskip(SKIP_1) | instid1(VALU_DEP_2)
	v_div_scale_f64 v[26:27], null, v[34:35], v[34:35], 1.0
	v_div_scale_f64 v[30:31], vcc_lo, 1.0, v[34:35], 1.0
	v_rcp_f64_e32 v[36:37], v[26:27]
	v_nop
	s_delay_alu instid0(TRANS32_DEP_1) | instskip(NEXT) | instid1(VALU_DEP_1)
	v_fma_f64 v[28:29], -v[26:27], v[36:37], 1.0
	v_fmac_f64_e32 v[36:37], v[36:37], v[28:29]
	s_delay_alu instid0(VALU_DEP_1) | instskip(NEXT) | instid1(VALU_DEP_1)
	v_fma_f64 v[28:29], -v[26:27], v[36:37], 1.0
	v_fmac_f64_e32 v[36:37], v[36:37], v[28:29]
	s_delay_alu instid0(VALU_DEP_1) | instskip(NEXT) | instid1(VALU_DEP_1)
	v_mul_f64_e32 v[38:39], v[30:31], v[36:37]
	v_fma_f64 v[40:41], -v[26:27], v[38:39], v[30:31]
	ds_load_b128 v[26:29], v9
	ds_load_b128 v[30:33], v9 offset:32
	s_wait_dscnt 0x1
	v_mul_f64_e64 v[42:43], v[28:29], -v[20:21]
	v_mul_f64_e32 v[44:45], v[18:19], v[28:29]
	s_wait_dscnt 0x0
	v_mul_f64_e64 v[46:47], v[32:33], -v[24:25]
	v_mul_f64_e32 v[48:49], v[22:23], v[32:33]
	v_mul_f64_e64 v[50:51], v[4:5], -v[32:33]
	v_mul_f64_e32 v[4:5], v[4:5], v[30:31]
	v_div_fmas_f64 v[36:37], v[40:41], v[36:37], v[38:39]
	v_mul_f64_e32 v[38:39], v[16:17], v[26:27]
	v_mul_f64_e64 v[16:17], v[16:17], -v[28:29]
	v_fmac_f64_e32 v[42:43], v[18:19], v[26:27]
	v_fmac_f64_e32 v[44:45], v[20:21], v[26:27]
	;; [unrolled: 1-line block ×5, first 2 shown]
	v_fma_f64 v[18:19], v[10:11], 0, -v[6:7]
	v_fmac_f64_e32 v[4:5], v[32:33], v[2:3]
	v_fma_f64 v[2:3], 0, v[6:7], v[10:11]
	v_div_fixup_f64 v[20:21], v[36:37], v[34:35], 1.0
	v_fmac_f64_e32 v[38:39], v[28:29], v[14:15]
	v_fmac_f64_e32 v[16:17], v[26:27], v[14:15]
	v_add_f64_e64 v[10:11], v[42:43], -v[46:47]
	v_add_f64_e64 v[22:23], v[44:45], -v[48:49]
	v_mul_f64_e32 v[6:7], v[18:19], v[20:21]
	v_add_f64_e64 v[18:19], v[4:5], -v[38:39]
	v_add_f64_e64 v[24:25], v[50:51], -v[16:17]
	v_mul_f64_e32 v[20:21], v[2:3], v[20:21]
	s_delay_alu instid0(VALU_DEP_4) | instskip(SKIP_3) | instid1(VALU_DEP_4)
	v_mul_f64_e64 v[14:15], v[6:7], -v[22:23]
	v_mul_f64_e32 v[16:17], v[6:7], v[10:11]
	v_mul_f64_e64 v[2:3], v[6:7], -v[18:19]
	v_mul_f64_e32 v[4:5], v[6:7], v[24:25]
	v_fmac_f64_e32 v[14:15], v[10:11], v[20:21]
	s_delay_alu instid0(VALU_DEP_4) | instskip(NEXT) | instid1(VALU_DEP_4)
	v_fmac_f64_e32 v[16:17], v[22:23], v[20:21]
	v_fmac_f64_e32 v[2:3], v[24:25], v[20:21]
	s_delay_alu instid0(VALU_DEP_4)
	v_fmac_f64_e32 v[4:5], v[18:19], v[20:21]
	ds_store_b128 v12, v[14:17] offset:192
.LBB72_13:
	s_or_b32 exec_lo, exec_lo, s1
	v_lshlrev_b32_e32 v0, 4, v0
	ds_store_b128 v0, v[2:5] offset:192
.LBB72_14:
	s_or_b32 exec_lo, exec_lo, s0
	s_wait_dscnt 0x0
	; wave barrier
	s_and_saveexec_b32 s0, s2
	s_cbranch_execz .LBB72_16
; %bb.15:
	ds_load_2addr_b64 v[2:5], v12 offset0:24 offset1:25
	s_wait_dscnt 0x0
	s_wait_kmcnt 0x0
	global_store_b128 v1, v[2:5], s[4:5] scale_offset
.LBB72_16:
	s_endpgm
	.section	.rodata,"a",@progbits
	.p2align	6, 0x0
	.amdhsa_kernel _ZN9rocsparseL44gtsv_nopivot_strided_batch_pcr_shared_kernelILj4E21rocsparse_complex_numIdEEEviiiPKT0_S5_S5_PS3_
		.amdhsa_group_segment_fixed_size 320
		.amdhsa_private_segment_fixed_size 0
		.amdhsa_kernarg_size 48
		.amdhsa_user_sgpr_count 2
		.amdhsa_user_sgpr_dispatch_ptr 0
		.amdhsa_user_sgpr_queue_ptr 0
		.amdhsa_user_sgpr_kernarg_segment_ptr 1
		.amdhsa_user_sgpr_dispatch_id 0
		.amdhsa_user_sgpr_kernarg_preload_length 0
		.amdhsa_user_sgpr_kernarg_preload_offset 0
		.amdhsa_user_sgpr_private_segment_size 0
		.amdhsa_wavefront_size32 1
		.amdhsa_uses_dynamic_stack 0
		.amdhsa_enable_private_segment 0
		.amdhsa_system_sgpr_workgroup_id_x 1
		.amdhsa_system_sgpr_workgroup_id_y 0
		.amdhsa_system_sgpr_workgroup_id_z 0
		.amdhsa_system_sgpr_workgroup_info 0
		.amdhsa_system_vgpr_workitem_id 0
		.amdhsa_next_free_vgpr 62
		.amdhsa_next_free_sgpr 8
		.amdhsa_named_barrier_count 0
		.amdhsa_reserve_vcc 1
		.amdhsa_float_round_mode_32 0
		.amdhsa_float_round_mode_16_64 0
		.amdhsa_float_denorm_mode_32 3
		.amdhsa_float_denorm_mode_16_64 3
		.amdhsa_fp16_overflow 0
		.amdhsa_memory_ordered 1
		.amdhsa_forward_progress 1
		.amdhsa_inst_pref_size 14
		.amdhsa_round_robin_scheduling 0
		.amdhsa_exception_fp_ieee_invalid_op 0
		.amdhsa_exception_fp_denorm_src 0
		.amdhsa_exception_fp_ieee_div_zero 0
		.amdhsa_exception_fp_ieee_overflow 0
		.amdhsa_exception_fp_ieee_underflow 0
		.amdhsa_exception_fp_ieee_inexact 0
		.amdhsa_exception_int_div_zero 0
	.end_amdhsa_kernel
	.section	.text._ZN9rocsparseL44gtsv_nopivot_strided_batch_pcr_shared_kernelILj4E21rocsparse_complex_numIdEEEviiiPKT0_S5_S5_PS3_,"axG",@progbits,_ZN9rocsparseL44gtsv_nopivot_strided_batch_pcr_shared_kernelILj4E21rocsparse_complex_numIdEEEviiiPKT0_S5_S5_PS3_,comdat
.Lfunc_end72:
	.size	_ZN9rocsparseL44gtsv_nopivot_strided_batch_pcr_shared_kernelILj4E21rocsparse_complex_numIdEEEviiiPKT0_S5_S5_PS3_, .Lfunc_end72-_ZN9rocsparseL44gtsv_nopivot_strided_batch_pcr_shared_kernelILj4E21rocsparse_complex_numIdEEEviiiPKT0_S5_S5_PS3_
                                        ; -- End function
	.set _ZN9rocsparseL44gtsv_nopivot_strided_batch_pcr_shared_kernelILj4E21rocsparse_complex_numIdEEEviiiPKT0_S5_S5_PS3_.num_vgpr, 62
	.set _ZN9rocsparseL44gtsv_nopivot_strided_batch_pcr_shared_kernelILj4E21rocsparse_complex_numIdEEEviiiPKT0_S5_S5_PS3_.num_agpr, 0
	.set _ZN9rocsparseL44gtsv_nopivot_strided_batch_pcr_shared_kernelILj4E21rocsparse_complex_numIdEEEviiiPKT0_S5_S5_PS3_.numbered_sgpr, 8
	.set _ZN9rocsparseL44gtsv_nopivot_strided_batch_pcr_shared_kernelILj4E21rocsparse_complex_numIdEEEviiiPKT0_S5_S5_PS3_.num_named_barrier, 0
	.set _ZN9rocsparseL44gtsv_nopivot_strided_batch_pcr_shared_kernelILj4E21rocsparse_complex_numIdEEEviiiPKT0_S5_S5_PS3_.private_seg_size, 0
	.set _ZN9rocsparseL44gtsv_nopivot_strided_batch_pcr_shared_kernelILj4E21rocsparse_complex_numIdEEEviiiPKT0_S5_S5_PS3_.uses_vcc, 1
	.set _ZN9rocsparseL44gtsv_nopivot_strided_batch_pcr_shared_kernelILj4E21rocsparse_complex_numIdEEEviiiPKT0_S5_S5_PS3_.uses_flat_scratch, 0
	.set _ZN9rocsparseL44gtsv_nopivot_strided_batch_pcr_shared_kernelILj4E21rocsparse_complex_numIdEEEviiiPKT0_S5_S5_PS3_.has_dyn_sized_stack, 0
	.set _ZN9rocsparseL44gtsv_nopivot_strided_batch_pcr_shared_kernelILj4E21rocsparse_complex_numIdEEEviiiPKT0_S5_S5_PS3_.has_recursion, 0
	.set _ZN9rocsparseL44gtsv_nopivot_strided_batch_pcr_shared_kernelILj4E21rocsparse_complex_numIdEEEviiiPKT0_S5_S5_PS3_.has_indirect_call, 0
	.section	.AMDGPU.csdata,"",@progbits
; Kernel info:
; codeLenInByte = 1704
; TotalNumSgprs: 10
; NumVgprs: 62
; ScratchSize: 0
; MemoryBound: 1
; FloatMode: 240
; IeeeMode: 1
; LDSByteSize: 320 bytes/workgroup (compile time only)
; SGPRBlocks: 0
; VGPRBlocks: 3
; NumSGPRsForWavesPerEU: 10
; NumVGPRsForWavesPerEU: 62
; NamedBarCnt: 0
; Occupancy: 16
; WaveLimiterHint : 0
; COMPUTE_PGM_RSRC2:SCRATCH_EN: 0
; COMPUTE_PGM_RSRC2:USER_SGPR: 2
; COMPUTE_PGM_RSRC2:TRAP_HANDLER: 0
; COMPUTE_PGM_RSRC2:TGID_X_EN: 1
; COMPUTE_PGM_RSRC2:TGID_Y_EN: 0
; COMPUTE_PGM_RSRC2:TGID_Z_EN: 0
; COMPUTE_PGM_RSRC2:TIDIG_COMP_CNT: 0
	.section	.text._ZN9rocsparseL44gtsv_nopivot_strided_batch_pcr_shared_kernelILj8E21rocsparse_complex_numIdEEEviiiPKT0_S5_S5_PS3_,"axG",@progbits,_ZN9rocsparseL44gtsv_nopivot_strided_batch_pcr_shared_kernelILj8E21rocsparse_complex_numIdEEEviiiPKT0_S5_S5_PS3_,comdat
	.globl	_ZN9rocsparseL44gtsv_nopivot_strided_batch_pcr_shared_kernelILj8E21rocsparse_complex_numIdEEEviiiPKT0_S5_S5_PS3_ ; -- Begin function _ZN9rocsparseL44gtsv_nopivot_strided_batch_pcr_shared_kernelILj8E21rocsparse_complex_numIdEEEviiiPKT0_S5_S5_PS3_
	.p2align	8
	.type	_ZN9rocsparseL44gtsv_nopivot_strided_batch_pcr_shared_kernelILj8E21rocsparse_complex_numIdEEEviiiPKT0_S5_S5_PS3_,@function
_ZN9rocsparseL44gtsv_nopivot_strided_batch_pcr_shared_kernelILj8E21rocsparse_complex_numIdEEEviiiPKT0_S5_S5_PS3_: ; @_ZN9rocsparseL44gtsv_nopivot_strided_batch_pcr_shared_kernelILj8E21rocsparse_complex_numIdEEEviiiPKT0_S5_S5_PS3_
; %bb.0:
	s_clause 0x1
	s_load_b32 s2, s[0:1], 0x8
	s_load_b32 s3, s[0:1], 0x0
	s_bfe_u32 s4, ttmp6, 0x4000c
	s_and_b32 s5, ttmp6, 15
	s_add_co_i32 s4, s4, 1
	s_getreg_b32 s6, hwreg(HW_REG_IB_STS2, 6, 4)
	s_mul_i32 s4, ttmp9, s4
	v_mov_b64_e32 v[4:5], 0
	s_add_co_i32 s5, s5, s4
	s_cmp_eq_u32 s6, 0
	v_mov_b64_e32 v[8:9], 0
	s_cselect_b32 s4, ttmp9, s5
	v_mov_b64_e32 v[10:11], 0
	s_wait_kmcnt 0x0
	v_mad_u32 v1, s2, s4, v0
	v_cmp_gt_i32_e64 s2, s3, v0
	s_and_saveexec_b32 s4, s2
	s_cbranch_execz .LBB73_2
; %bb.1:
	s_load_b64 s[6:7], s[0:1], 0x10
	s_wait_kmcnt 0x0
	global_load_b128 v[8:11], v1, s[6:7] scale_offset
.LBB73_2:
	s_wait_xcnt 0x0
	s_or_b32 exec_lo, exec_lo, s4
	v_mov_b64_e32 v[6:7], 0
	v_lshlrev_b32_e32 v12, 4, v0
	s_wait_loadcnt 0x0
	ds_store_b128 v12, v[8:11]
	s_and_saveexec_b32 s4, s2
	s_cbranch_execz .LBB73_4
; %bb.3:
	s_load_b64 s[6:7], s[0:1], 0x18
	s_wait_kmcnt 0x0
	global_load_b128 v[4:7], v1, s[6:7] scale_offset
.LBB73_4:
	s_wait_xcnt 0x0
	s_or_b32 exec_lo, exec_lo, s4
	s_load_b64 s[4:5], s[0:1], 0x28
	v_mov_b64_e32 v[2:3], 0
	v_mov_b64_e32 v[8:9], 0
	;; [unrolled: 1-line block ×3, first 2 shown]
	s_wait_loadcnt 0x0
	ds_store_b128 v12, v[4:7] offset:128
	s_and_saveexec_b32 s6, s2
	s_cbranch_execz .LBB73_6
; %bb.5:
	s_wait_xcnt 0x0
	s_load_b64 s[0:1], s[0:1], 0x20
	s_wait_kmcnt 0x0
	global_load_b128 v[8:11], v1, s[0:1] scale_offset
.LBB73_6:
	s_wait_xcnt 0x0
	s_or_b32 exec_lo, exec_lo, s6
	v_mov_b64_e32 v[4:5], 0
	v_or_b32_e32 v7, 0x80, v12
	v_or_b32_e32 v6, 0x100, v12
	s_wait_loadcnt 0x0
	ds_store_b128 v12, v[8:11] offset:256
	s_and_saveexec_b32 s0, s2
	s_cbranch_execz .LBB73_8
; %bb.7:
	s_wait_kmcnt 0x0
	global_load_b128 v[2:5], v1, s[4:5] scale_offset
.LBB73_8:
	s_wait_xcnt 0x0
	s_or_b32 exec_lo, exec_lo, s0
	v_sub_nc_u32_e64 v8, v0, 1 clamp
	s_add_co_i32 s1, s3, -1
	s_wait_loadcnt 0x0
	ds_store_b128 v12, v[2:5] offset:512
	v_add_min_i32_e64 v14, v0, 1, s1
	s_wait_dscnt 0x0
	v_lshlrev_b32_e32 v13, 4, v8
	; wave barrier
	s_delay_alu instid0(VALU_DEP_2)
	v_lshlrev_b32_e32 v56, 4, v14
	ds_load_b128 v[2:5], v13 offset:128
	ds_load_b128 v[8:11], v13
	ds_load_b128 v[14:17], v56 offset:128
	ds_load_b128 v[18:21], v56
	s_wait_dscnt 0x3
	v_mul_f64_e32 v[38:39], v[4:5], v[4:5]
	s_wait_dscnt 0x1
	v_mul_f64_e32 v[40:41], v[16:17], v[16:17]
	s_delay_alu instid0(VALU_DEP_2) | instskip(NEXT) | instid1(VALU_DEP_2)
	v_fmac_f64_e32 v[38:39], v[2:3], v[2:3]
	v_fmac_f64_e32 v[40:41], v[14:15], v[14:15]
	s_delay_alu instid0(VALU_DEP_2) | instskip(NEXT) | instid1(VALU_DEP_2)
	v_div_scale_f64 v[22:23], null, v[38:39], v[38:39], 1.0
	v_div_scale_f64 v[30:31], null, v[40:41], v[40:41], 1.0
	v_div_scale_f64 v[28:29], vcc_lo, 1.0, v[38:39], 1.0
	v_div_scale_f64 v[34:35], s0, 1.0, v[40:41], 1.0
	s_delay_alu instid0(VALU_DEP_4) | instskip(NEXT) | instid1(VALU_DEP_3)
	v_rcp_f64_e32 v[32:33], v[22:23]
	v_rcp_f64_e32 v[42:43], v[30:31]
	s_delay_alu instid0(TRANS32_DEP_2) | instskip(NEXT) | instid1(TRANS32_DEP_1)
	v_fma_f64 v[24:25], -v[22:23], v[32:33], 1.0
	v_fma_f64 v[26:27], -v[30:31], v[42:43], 1.0
	s_delay_alu instid0(VALU_DEP_2) | instskip(NEXT) | instid1(VALU_DEP_2)
	v_fmac_f64_e32 v[32:33], v[32:33], v[24:25]
	v_fmac_f64_e32 v[42:43], v[42:43], v[26:27]
	s_delay_alu instid0(VALU_DEP_2) | instskip(NEXT) | instid1(VALU_DEP_2)
	v_fma_f64 v[24:25], -v[22:23], v[32:33], 1.0
	v_fma_f64 v[26:27], -v[30:31], v[42:43], 1.0
	s_delay_alu instid0(VALU_DEP_2) | instskip(NEXT) | instid1(VALU_DEP_2)
	v_fmac_f64_e32 v[32:33], v[32:33], v[24:25]
	v_fmac_f64_e32 v[42:43], v[42:43], v[26:27]
	s_delay_alu instid0(VALU_DEP_2) | instskip(NEXT) | instid1(VALU_DEP_2)
	v_mul_f64_e32 v[36:37], v[28:29], v[32:33]
	v_mul_f64_e32 v[44:45], v[34:35], v[42:43]
	s_delay_alu instid0(VALU_DEP_2)
	v_fma_f64 v[46:47], -v[22:23], v[36:37], v[28:29]
	ds_load_b128 v[22:25], v12
	ds_load_b128 v[26:29], v12 offset:512
	v_fma_f64 v[48:49], -v[30:31], v[44:45], v[34:35]
	s_wait_dscnt 0x1
	v_mul_f64_e64 v[50:51], v[4:5], -v[22:23]
	v_div_fmas_f64 v[46:47], v[46:47], v[32:33], v[36:37]
	ds_load_b128 v[30:33], v6
	ds_load_b128 v[34:37], v7
	s_mov_b32 vcc_lo, s0
	v_div_fmas_f64 v[42:43], v[48:49], v[42:43], v[44:45]
	v_mul_f64_e32 v[44:45], v[4:5], v[24:25]
	s_wait_dscnt 0x1
	v_mul_f64_e64 v[52:53], v[16:17], -v[30:31]
	v_fmac_f64_e32 v[50:51], v[24:25], v[2:3]
	v_div_fixup_f64 v[38:39], v[46:47], v[38:39], 1.0
	v_mul_f64_e32 v[46:47], v[16:17], v[32:33]
	v_div_fixup_f64 v[40:41], v[42:43], v[40:41], 1.0
	v_fmac_f64_e32 v[44:45], v[22:23], v[2:3]
	ds_load_b128 v[2:5], v13 offset:512
	ds_load_b128 v[22:25], v13 offset:256
	v_sub_nc_u32_e64 v13, v0, 2 clamp
	s_delay_alu instid0(VALU_DEP_1)
	v_lshlrev_b32_e32 v13, 4, v13
	v_fmac_f64_e32 v[52:53], v[32:33], v[14:15]
	v_mul_f64_e32 v[42:43], v[38:39], v[50:51]
	v_fmac_f64_e32 v[46:47], v[30:31], v[14:15]
	ds_load_b128 v[14:17], v56 offset:512
	ds_load_b128 v[30:33], v56 offset:256
	s_wait_dscnt 0x0
	; wave barrier
	v_mul_f64_e32 v[38:39], v[38:39], v[44:45]
	v_mul_f64_e32 v[48:49], v[40:41], v[52:53]
	v_mul_f64_e64 v[44:45], v[42:43], -v[4:5]
	v_mul_f64_e32 v[50:51], v[42:43], v[2:3]
	v_mul_f64_e64 v[52:53], v[42:43], -v[24:25]
	v_mul_f64_e32 v[54:55], v[42:43], v[22:23]
	v_mul_f64_e32 v[40:41], v[40:41], v[46:47]
	v_mul_f64_e64 v[58:59], v[48:49], -v[16:17]
	v_mul_f64_e32 v[60:61], v[48:49], v[14:15]
	v_mul_f64_e64 v[46:47], v[48:49], -v[20:21]
	v_mul_f64_e32 v[56:57], v[48:49], v[18:19]
	v_fmac_f64_e32 v[44:45], v[2:3], v[38:39]
	v_fmac_f64_e32 v[50:51], v[4:5], v[38:39]
	;; [unrolled: 1-line block ×4, first 2 shown]
	v_mul_f64_e32 v[2:3], v[42:43], v[10:11]
	v_mul_f64_e64 v[4:5], v[42:43], -v[8:9]
	v_mul_f64_e32 v[22:23], v[48:49], v[32:33]
	v_mul_f64_e64 v[24:25], v[48:49], -v[30:31]
	v_fmac_f64_e32 v[58:59], v[14:15], v[40:41]
	v_fmac_f64_e32 v[60:61], v[16:17], v[40:41]
	;; [unrolled: 1-line block ×4, first 2 shown]
	v_add_f64_e64 v[14:15], v[26:27], -v[44:45]
	v_add_f64_e64 v[16:17], v[28:29], -v[50:51]
	;; [unrolled: 1-line block ×4, first 2 shown]
	v_fma_f64 v[2:3], -v[8:9], v[38:39], v[2:3]
	v_fma_f64 v[4:5], -v[10:11], v[38:39], v[4:5]
	;; [unrolled: 1-line block ×4, first 2 shown]
	v_add_f64_e64 v[14:15], v[14:15], -v[58:59]
	v_add_f64_e64 v[16:17], v[16:17], -v[60:61]
	;; [unrolled: 1-line block ×4, first 2 shown]
	ds_store_b128 v12, v[14:17] offset:512
	ds_store_b128 v12, v[2:5]
	ds_store_b128 v7, v[18:21]
	;; [unrolled: 1-line block ×3, first 2 shown]
	s_wait_dscnt 0x0
	; wave barrier
	ds_load_b128 v[2:5], v13 offset:128
	ds_load_b128 v[8:11], v13
	v_add_min_i32_e64 v14, v0, 2, s1
	s_delay_alu instid0(VALU_DEP_1)
	v_lshlrev_b32_e32 v56, 4, v14
	ds_load_b128 v[14:17], v56 offset:128
	ds_load_b128 v[18:21], v56
	s_wait_dscnt 0x3
	v_mul_f64_e32 v[38:39], v[4:5], v[4:5]
	s_wait_dscnt 0x1
	v_mul_f64_e32 v[40:41], v[16:17], v[16:17]
	s_delay_alu instid0(VALU_DEP_2) | instskip(NEXT) | instid1(VALU_DEP_2)
	v_fmac_f64_e32 v[38:39], v[2:3], v[2:3]
	v_fmac_f64_e32 v[40:41], v[14:15], v[14:15]
	s_delay_alu instid0(VALU_DEP_2) | instskip(SKIP_1) | instid1(VALU_DEP_3)
	v_div_scale_f64 v[22:23], null, v[38:39], v[38:39], 1.0
	v_div_scale_f64 v[28:29], vcc_lo, 1.0, v[38:39], 1.0
	v_div_scale_f64 v[30:31], null, v[40:41], v[40:41], 1.0
	v_div_scale_f64 v[34:35], s0, 1.0, v[40:41], 1.0
	s_delay_alu instid0(VALU_DEP_4) | instskip(NEXT) | instid1(VALU_DEP_2)
	v_rcp_f64_e32 v[32:33], v[22:23]
	v_rcp_f64_e32 v[42:43], v[30:31]
	s_delay_alu instid0(TRANS32_DEP_2) | instskip(NEXT) | instid1(TRANS32_DEP_1)
	v_fma_f64 v[24:25], -v[22:23], v[32:33], 1.0
	v_fma_f64 v[26:27], -v[30:31], v[42:43], 1.0
	s_delay_alu instid0(VALU_DEP_2) | instskip(NEXT) | instid1(VALU_DEP_2)
	v_fmac_f64_e32 v[32:33], v[32:33], v[24:25]
	v_fmac_f64_e32 v[42:43], v[42:43], v[26:27]
	s_delay_alu instid0(VALU_DEP_2) | instskip(NEXT) | instid1(VALU_DEP_2)
	v_fma_f64 v[24:25], -v[22:23], v[32:33], 1.0
	v_fma_f64 v[26:27], -v[30:31], v[42:43], 1.0
	s_delay_alu instid0(VALU_DEP_2) | instskip(NEXT) | instid1(VALU_DEP_2)
	v_fmac_f64_e32 v[32:33], v[32:33], v[24:25]
	v_fmac_f64_e32 v[42:43], v[42:43], v[26:27]
	s_delay_alu instid0(VALU_DEP_2) | instskip(NEXT) | instid1(VALU_DEP_2)
	v_mul_f64_e32 v[36:37], v[28:29], v[32:33]
	v_mul_f64_e32 v[44:45], v[34:35], v[42:43]
	s_delay_alu instid0(VALU_DEP_2)
	v_fma_f64 v[46:47], -v[22:23], v[36:37], v[28:29]
	ds_load_b128 v[22:25], v12
	ds_load_b128 v[26:29], v12 offset:512
	v_fma_f64 v[48:49], -v[30:31], v[44:45], v[34:35]
	s_wait_dscnt 0x1
	v_mul_f64_e64 v[50:51], v[4:5], -v[22:23]
	v_div_fmas_f64 v[46:47], v[46:47], v[32:33], v[36:37]
	ds_load_b128 v[30:33], v6
	ds_load_b128 v[34:37], v7
	s_mov_b32 vcc_lo, s0
	s_mov_b32 s0, exec_lo
	v_div_fmas_f64 v[42:43], v[48:49], v[42:43], v[44:45]
	v_mul_f64_e32 v[44:45], v[4:5], v[24:25]
	s_wait_dscnt 0x1
	v_mul_f64_e64 v[52:53], v[16:17], -v[30:31]
	v_fmac_f64_e32 v[50:51], v[24:25], v[2:3]
	v_div_fixup_f64 v[38:39], v[46:47], v[38:39], 1.0
	v_mul_f64_e32 v[46:47], v[16:17], v[32:33]
	v_div_fixup_f64 v[40:41], v[42:43], v[40:41], 1.0
	v_fmac_f64_e32 v[44:45], v[22:23], v[2:3]
	ds_load_b128 v[2:5], v13 offset:512
	ds_load_b128 v[22:25], v13 offset:256
	v_fmac_f64_e32 v[52:53], v[32:33], v[14:15]
	v_mul_f64_e32 v[42:43], v[38:39], v[50:51]
	v_fmac_f64_e32 v[46:47], v[30:31], v[14:15]
	ds_load_b128 v[14:17], v56 offset:512
	ds_load_b128 v[30:33], v56 offset:256
	s_wait_dscnt 0x0
	; wave barrier
	v_mul_f64_e32 v[38:39], v[38:39], v[44:45]
	v_mul_f64_e32 v[48:49], v[40:41], v[52:53]
	v_mul_f64_e64 v[44:45], v[42:43], -v[4:5]
	v_mul_f64_e32 v[50:51], v[42:43], v[2:3]
	v_mul_f64_e64 v[52:53], v[42:43], -v[24:25]
	v_mul_f64_e32 v[54:55], v[42:43], v[22:23]
	v_mul_f64_e32 v[40:41], v[40:41], v[46:47]
	v_mul_f64_e64 v[58:59], v[48:49], -v[16:17]
	v_mul_f64_e32 v[60:61], v[48:49], v[14:15]
	v_mul_f64_e64 v[46:47], v[48:49], -v[20:21]
	v_mul_f64_e32 v[56:57], v[48:49], v[18:19]
	v_fmac_f64_e32 v[44:45], v[2:3], v[38:39]
	v_fmac_f64_e32 v[50:51], v[4:5], v[38:39]
	;; [unrolled: 1-line block ×4, first 2 shown]
	v_mul_f64_e32 v[2:3], v[42:43], v[10:11]
	v_mul_f64_e64 v[4:5], v[42:43], -v[8:9]
	v_mul_f64_e32 v[22:23], v[48:49], v[32:33]
	v_mul_f64_e64 v[24:25], v[48:49], -v[30:31]
	v_fmac_f64_e32 v[58:59], v[14:15], v[40:41]
	v_fmac_f64_e32 v[60:61], v[16:17], v[40:41]
	;; [unrolled: 1-line block ×4, first 2 shown]
	v_add_f64_e64 v[14:15], v[26:27], -v[44:45]
	v_add_f64_e64 v[16:17], v[28:29], -v[50:51]
	;; [unrolled: 1-line block ×4, first 2 shown]
	v_fma_f64 v[2:3], -v[8:9], v[38:39], v[2:3]
	v_fma_f64 v[4:5], -v[10:11], v[38:39], v[4:5]
	v_fma_f64 v[8:9], -v[30:31], v[40:41], v[22:23]
	v_fma_f64 v[10:11], -v[32:33], v[40:41], v[24:25]
	v_add_f64_e64 v[14:15], v[14:15], -v[58:59]
	v_add_f64_e64 v[16:17], v[16:17], -v[60:61]
	;; [unrolled: 1-line block ×4, first 2 shown]
	ds_store_b128 v12, v[14:17] offset:512
	ds_store_b128 v12, v[2:5]
	ds_store_b128 v7, v[18:21]
	;; [unrolled: 1-line block ×3, first 2 shown]
	s_wait_dscnt 0x0
	; wave barrier
	v_cmpx_gt_u32_e32 4, v0
	s_cbranch_execz .LBB73_14
; %bb.9:
	v_or_b32_e32 v8, 4, v0
	v_or_b32_e32 v9, 0x200, v12
	s_mov_b32 s1, exec_lo
                                        ; implicit-def: $vgpr4_vgpr5
	s_delay_alu instid0(VALU_DEP_2)
	v_cmpx_le_i32_e64 s3, v8
	s_xor_b32 s1, exec_lo, s1
	s_cbranch_execz .LBB73_11
; %bb.10:
	ds_load_b128 v[2:5], v7
	ds_load_b128 v[6:9], v9
	s_wait_dscnt 0x1
	v_mul_f64_e32 v[10:11], v[4:5], v[4:5]
	s_delay_alu instid0(VALU_DEP_1) | instskip(NEXT) | instid1(VALU_DEP_1)
	v_fmac_f64_e32 v[10:11], v[2:3], v[2:3]
	v_div_scale_f64 v[14:15], null, v[10:11], v[10:11], 1.0
	v_div_scale_f64 v[20:21], vcc_lo, 1.0, v[10:11], 1.0
	s_delay_alu instid0(VALU_DEP_2) | instskip(SKIP_1) | instid1(TRANS32_DEP_1)
	v_rcp_f64_e32 v[16:17], v[14:15]
	v_nop
	v_fma_f64 v[18:19], -v[14:15], v[16:17], 1.0
	s_delay_alu instid0(VALU_DEP_1) | instskip(NEXT) | instid1(VALU_DEP_1)
	v_fmac_f64_e32 v[16:17], v[16:17], v[18:19]
	v_fma_f64 v[18:19], -v[14:15], v[16:17], 1.0
	s_delay_alu instid0(VALU_DEP_1) | instskip(NEXT) | instid1(VALU_DEP_1)
	v_fmac_f64_e32 v[16:17], v[16:17], v[18:19]
	v_mul_f64_e32 v[18:19], v[20:21], v[16:17]
	s_delay_alu instid0(VALU_DEP_1) | instskip(SKIP_3) | instid1(VALU_DEP_3)
	v_fma_f64 v[14:15], -v[14:15], v[18:19], v[20:21]
	s_wait_dscnt 0x0
	v_mul_f64_e32 v[20:21], v[4:5], v[8:9]
	v_mul_f64_e64 v[4:5], v[4:5], -v[6:7]
	v_div_fmas_f64 v[14:15], v[14:15], v[16:17], v[18:19]
	s_delay_alu instid0(VALU_DEP_3) | instskip(NEXT) | instid1(VALU_DEP_3)
	v_fmac_f64_e32 v[20:21], v[6:7], v[2:3]
	v_fmac_f64_e32 v[4:5], v[8:9], v[2:3]
                                        ; implicit-def: $vgpr9
                                        ; implicit-def: $vgpr8
	s_delay_alu instid0(VALU_DEP_3) | instskip(NEXT) | instid1(VALU_DEP_1)
	v_div_fixup_f64 v[6:7], v[14:15], v[10:11], 1.0
	v_mul_f64_e32 v[2:3], v[6:7], v[20:21]
	s_delay_alu instid0(VALU_DEP_3)
	v_mul_f64_e32 v[4:5], v[6:7], v[4:5]
                                        ; implicit-def: $vgpr7
                                        ; implicit-def: $vgpr6
.LBB73_11:
	s_and_not1_saveexec_b32 s1, s1
	s_cbranch_execz .LBB73_13
; %bb.12:
	ds_load_b128 v[2:5], v7
	ds_load_b128 v[14:17], v12 offset:64
	ds_load_b128 v[18:21], v7 offset:64
	ds_load_b128 v[22:25], v6
	v_mov_b32_e32 v0, v8
	s_wait_dscnt 0x1
	v_mul_f64_e32 v[6:7], v[4:5], v[18:19]
	s_wait_dscnt 0x0
	v_mul_f64_e32 v[10:11], v[16:17], v[22:23]
	v_mul_f64_e64 v[26:27], v[4:5], -v[20:21]
	v_mul_f64_e64 v[28:29], v[16:17], -v[24:25]
	s_delay_alu instid0(VALU_DEP_4) | instskip(NEXT) | instid1(VALU_DEP_4)
	v_fmac_f64_e32 v[6:7], v[20:21], v[2:3]
	v_fmac_f64_e32 v[10:11], v[24:25], v[14:15]
	s_delay_alu instid0(VALU_DEP_4) | instskip(NEXT) | instid1(VALU_DEP_4)
	v_fmac_f64_e32 v[26:27], v[18:19], v[2:3]
	v_fmac_f64_e32 v[28:29], v[22:23], v[14:15]
	s_delay_alu instid0(VALU_DEP_3) | instskip(NEXT) | instid1(VALU_DEP_2)
	v_add_f64_e64 v[6:7], v[6:7], -v[10:11]
	v_add_f64_e64 v[10:11], v[26:27], -v[28:29]
	s_delay_alu instid0(VALU_DEP_2) | instskip(NEXT) | instid1(VALU_DEP_1)
	v_mul_f64_e32 v[34:35], v[6:7], v[6:7]
	v_fmac_f64_e32 v[34:35], v[10:11], v[10:11]
	s_delay_alu instid0(VALU_DEP_1) | instskip(SKIP_1) | instid1(VALU_DEP_2)
	v_div_scale_f64 v[26:27], null, v[34:35], v[34:35], 1.0
	v_div_scale_f64 v[30:31], vcc_lo, 1.0, v[34:35], 1.0
	v_rcp_f64_e32 v[36:37], v[26:27]
	v_nop
	s_delay_alu instid0(TRANS32_DEP_1) | instskip(NEXT) | instid1(VALU_DEP_1)
	v_fma_f64 v[28:29], -v[26:27], v[36:37], 1.0
	v_fmac_f64_e32 v[36:37], v[36:37], v[28:29]
	s_delay_alu instid0(VALU_DEP_1) | instskip(NEXT) | instid1(VALU_DEP_1)
	v_fma_f64 v[28:29], -v[26:27], v[36:37], 1.0
	v_fmac_f64_e32 v[36:37], v[36:37], v[28:29]
	s_delay_alu instid0(VALU_DEP_1) | instskip(NEXT) | instid1(VALU_DEP_1)
	v_mul_f64_e32 v[38:39], v[30:31], v[36:37]
	v_fma_f64 v[40:41], -v[26:27], v[38:39], v[30:31]
	ds_load_b128 v[26:29], v9
	ds_load_b128 v[30:33], v9 offset:64
	s_wait_dscnt 0x1
	v_mul_f64_e64 v[42:43], v[28:29], -v[20:21]
	v_mul_f64_e32 v[44:45], v[18:19], v[28:29]
	s_wait_dscnt 0x0
	v_mul_f64_e64 v[46:47], v[32:33], -v[24:25]
	v_mul_f64_e32 v[48:49], v[22:23], v[32:33]
	v_mul_f64_e64 v[50:51], v[4:5], -v[32:33]
	v_mul_f64_e32 v[4:5], v[4:5], v[30:31]
	v_div_fmas_f64 v[36:37], v[40:41], v[36:37], v[38:39]
	v_mul_f64_e32 v[38:39], v[16:17], v[26:27]
	v_mul_f64_e64 v[16:17], v[16:17], -v[28:29]
	v_fmac_f64_e32 v[42:43], v[18:19], v[26:27]
	v_fmac_f64_e32 v[44:45], v[20:21], v[26:27]
	;; [unrolled: 1-line block ×5, first 2 shown]
	v_fma_f64 v[18:19], v[10:11], 0, -v[6:7]
	v_fmac_f64_e32 v[4:5], v[32:33], v[2:3]
	v_fma_f64 v[2:3], 0, v[6:7], v[10:11]
	v_div_fixup_f64 v[20:21], v[36:37], v[34:35], 1.0
	v_fmac_f64_e32 v[38:39], v[28:29], v[14:15]
	v_fmac_f64_e32 v[16:17], v[26:27], v[14:15]
	v_add_f64_e64 v[10:11], v[42:43], -v[46:47]
	v_add_f64_e64 v[22:23], v[44:45], -v[48:49]
	v_mul_f64_e32 v[6:7], v[18:19], v[20:21]
	v_add_f64_e64 v[18:19], v[4:5], -v[38:39]
	v_add_f64_e64 v[24:25], v[50:51], -v[16:17]
	v_mul_f64_e32 v[20:21], v[2:3], v[20:21]
	s_delay_alu instid0(VALU_DEP_4) | instskip(SKIP_3) | instid1(VALU_DEP_4)
	v_mul_f64_e64 v[14:15], v[6:7], -v[22:23]
	v_mul_f64_e32 v[16:17], v[6:7], v[10:11]
	v_mul_f64_e64 v[2:3], v[6:7], -v[18:19]
	v_mul_f64_e32 v[4:5], v[6:7], v[24:25]
	v_fmac_f64_e32 v[14:15], v[10:11], v[20:21]
	s_delay_alu instid0(VALU_DEP_4) | instskip(NEXT) | instid1(VALU_DEP_4)
	v_fmac_f64_e32 v[16:17], v[22:23], v[20:21]
	v_fmac_f64_e32 v[2:3], v[24:25], v[20:21]
	s_delay_alu instid0(VALU_DEP_4)
	v_fmac_f64_e32 v[4:5], v[18:19], v[20:21]
	ds_store_b128 v12, v[14:17] offset:384
.LBB73_13:
	s_or_b32 exec_lo, exec_lo, s1
	v_lshlrev_b32_e32 v0, 4, v0
	ds_store_b128 v0, v[2:5] offset:384
.LBB73_14:
	s_or_b32 exec_lo, exec_lo, s0
	s_wait_dscnt 0x0
	; wave barrier
	s_and_saveexec_b32 s0, s2
	s_cbranch_execz .LBB73_16
; %bb.15:
	ds_load_2addr_b64 v[2:5], v12 offset0:48 offset1:49
	s_wait_dscnt 0x0
	s_wait_kmcnt 0x0
	global_store_b128 v1, v[2:5], s[4:5] scale_offset
.LBB73_16:
	s_endpgm
	.section	.rodata,"a",@progbits
	.p2align	6, 0x0
	.amdhsa_kernel _ZN9rocsparseL44gtsv_nopivot_strided_batch_pcr_shared_kernelILj8E21rocsparse_complex_numIdEEEviiiPKT0_S5_S5_PS3_
		.amdhsa_group_segment_fixed_size 640
		.amdhsa_private_segment_fixed_size 0
		.amdhsa_kernarg_size 48
		.amdhsa_user_sgpr_count 2
		.amdhsa_user_sgpr_dispatch_ptr 0
		.amdhsa_user_sgpr_queue_ptr 0
		.amdhsa_user_sgpr_kernarg_segment_ptr 1
		.amdhsa_user_sgpr_dispatch_id 0
		.amdhsa_user_sgpr_kernarg_preload_length 0
		.amdhsa_user_sgpr_kernarg_preload_offset 0
		.amdhsa_user_sgpr_private_segment_size 0
		.amdhsa_wavefront_size32 1
		.amdhsa_uses_dynamic_stack 0
		.amdhsa_enable_private_segment 0
		.amdhsa_system_sgpr_workgroup_id_x 1
		.amdhsa_system_sgpr_workgroup_id_y 0
		.amdhsa_system_sgpr_workgroup_id_z 0
		.amdhsa_system_sgpr_workgroup_info 0
		.amdhsa_system_vgpr_workitem_id 0
		.amdhsa_next_free_vgpr 62
		.amdhsa_next_free_sgpr 8
		.amdhsa_named_barrier_count 0
		.amdhsa_reserve_vcc 1
		.amdhsa_float_round_mode_32 0
		.amdhsa_float_round_mode_16_64 0
		.amdhsa_float_denorm_mode_32 3
		.amdhsa_float_denorm_mode_16_64 3
		.amdhsa_fp16_overflow 0
		.amdhsa_memory_ordered 1
		.amdhsa_forward_progress 1
		.amdhsa_inst_pref_size 19
		.amdhsa_round_robin_scheduling 0
		.amdhsa_exception_fp_ieee_invalid_op 0
		.amdhsa_exception_fp_denorm_src 0
		.amdhsa_exception_fp_ieee_div_zero 0
		.amdhsa_exception_fp_ieee_overflow 0
		.amdhsa_exception_fp_ieee_underflow 0
		.amdhsa_exception_fp_ieee_inexact 0
		.amdhsa_exception_int_div_zero 0
	.end_amdhsa_kernel
	.section	.text._ZN9rocsparseL44gtsv_nopivot_strided_batch_pcr_shared_kernelILj8E21rocsparse_complex_numIdEEEviiiPKT0_S5_S5_PS3_,"axG",@progbits,_ZN9rocsparseL44gtsv_nopivot_strided_batch_pcr_shared_kernelILj8E21rocsparse_complex_numIdEEEviiiPKT0_S5_S5_PS3_,comdat
.Lfunc_end73:
	.size	_ZN9rocsparseL44gtsv_nopivot_strided_batch_pcr_shared_kernelILj8E21rocsparse_complex_numIdEEEviiiPKT0_S5_S5_PS3_, .Lfunc_end73-_ZN9rocsparseL44gtsv_nopivot_strided_batch_pcr_shared_kernelILj8E21rocsparse_complex_numIdEEEviiiPKT0_S5_S5_PS3_
                                        ; -- End function
	.set _ZN9rocsparseL44gtsv_nopivot_strided_batch_pcr_shared_kernelILj8E21rocsparse_complex_numIdEEEviiiPKT0_S5_S5_PS3_.num_vgpr, 62
	.set _ZN9rocsparseL44gtsv_nopivot_strided_batch_pcr_shared_kernelILj8E21rocsparse_complex_numIdEEEviiiPKT0_S5_S5_PS3_.num_agpr, 0
	.set _ZN9rocsparseL44gtsv_nopivot_strided_batch_pcr_shared_kernelILj8E21rocsparse_complex_numIdEEEviiiPKT0_S5_S5_PS3_.numbered_sgpr, 8
	.set _ZN9rocsparseL44gtsv_nopivot_strided_batch_pcr_shared_kernelILj8E21rocsparse_complex_numIdEEEviiiPKT0_S5_S5_PS3_.num_named_barrier, 0
	.set _ZN9rocsparseL44gtsv_nopivot_strided_batch_pcr_shared_kernelILj8E21rocsparse_complex_numIdEEEviiiPKT0_S5_S5_PS3_.private_seg_size, 0
	.set _ZN9rocsparseL44gtsv_nopivot_strided_batch_pcr_shared_kernelILj8E21rocsparse_complex_numIdEEEviiiPKT0_S5_S5_PS3_.uses_vcc, 1
	.set _ZN9rocsparseL44gtsv_nopivot_strided_batch_pcr_shared_kernelILj8E21rocsparse_complex_numIdEEEviiiPKT0_S5_S5_PS3_.uses_flat_scratch, 0
	.set _ZN9rocsparseL44gtsv_nopivot_strided_batch_pcr_shared_kernelILj8E21rocsparse_complex_numIdEEEviiiPKT0_S5_S5_PS3_.has_dyn_sized_stack, 0
	.set _ZN9rocsparseL44gtsv_nopivot_strided_batch_pcr_shared_kernelILj8E21rocsparse_complex_numIdEEEviiiPKT0_S5_S5_PS3_.has_recursion, 0
	.set _ZN9rocsparseL44gtsv_nopivot_strided_batch_pcr_shared_kernelILj8E21rocsparse_complex_numIdEEEviiiPKT0_S5_S5_PS3_.has_indirect_call, 0
	.section	.AMDGPU.csdata,"",@progbits
; Kernel info:
; codeLenInByte = 2348
; TotalNumSgprs: 10
; NumVgprs: 62
; ScratchSize: 0
; MemoryBound: 1
; FloatMode: 240
; IeeeMode: 1
; LDSByteSize: 640 bytes/workgroup (compile time only)
; SGPRBlocks: 0
; VGPRBlocks: 3
; NumSGPRsForWavesPerEU: 10
; NumVGPRsForWavesPerEU: 62
; NamedBarCnt: 0
; Occupancy: 16
; WaveLimiterHint : 0
; COMPUTE_PGM_RSRC2:SCRATCH_EN: 0
; COMPUTE_PGM_RSRC2:USER_SGPR: 2
; COMPUTE_PGM_RSRC2:TRAP_HANDLER: 0
; COMPUTE_PGM_RSRC2:TGID_X_EN: 1
; COMPUTE_PGM_RSRC2:TGID_Y_EN: 0
; COMPUTE_PGM_RSRC2:TGID_Z_EN: 0
; COMPUTE_PGM_RSRC2:TIDIG_COMP_CNT: 0
	.section	.text._ZN9rocsparseL44gtsv_nopivot_strided_batch_pcr_shared_kernelILj16E21rocsparse_complex_numIdEEEviiiPKT0_S5_S5_PS3_,"axG",@progbits,_ZN9rocsparseL44gtsv_nopivot_strided_batch_pcr_shared_kernelILj16E21rocsparse_complex_numIdEEEviiiPKT0_S5_S5_PS3_,comdat
	.globl	_ZN9rocsparseL44gtsv_nopivot_strided_batch_pcr_shared_kernelILj16E21rocsparse_complex_numIdEEEviiiPKT0_S5_S5_PS3_ ; -- Begin function _ZN9rocsparseL44gtsv_nopivot_strided_batch_pcr_shared_kernelILj16E21rocsparse_complex_numIdEEEviiiPKT0_S5_S5_PS3_
	.p2align	8
	.type	_ZN9rocsparseL44gtsv_nopivot_strided_batch_pcr_shared_kernelILj16E21rocsparse_complex_numIdEEEviiiPKT0_S5_S5_PS3_,@function
_ZN9rocsparseL44gtsv_nopivot_strided_batch_pcr_shared_kernelILj16E21rocsparse_complex_numIdEEEviiiPKT0_S5_S5_PS3_: ; @_ZN9rocsparseL44gtsv_nopivot_strided_batch_pcr_shared_kernelILj16E21rocsparse_complex_numIdEEEviiiPKT0_S5_S5_PS3_
; %bb.0:
	s_clause 0x1
	s_load_b32 s2, s[0:1], 0x8
	s_load_b32 s3, s[0:1], 0x0
	s_bfe_u32 s4, ttmp6, 0x4000c
	s_and_b32 s5, ttmp6, 15
	s_add_co_i32 s4, s4, 1
	s_getreg_b32 s6, hwreg(HW_REG_IB_STS2, 6, 4)
	s_mul_i32 s4, ttmp9, s4
	v_mov_b64_e32 v[4:5], 0
	s_add_co_i32 s5, s5, s4
	s_cmp_eq_u32 s6, 0
	v_mov_b64_e32 v[8:9], 0
	s_cselect_b32 s4, ttmp9, s5
	v_mov_b64_e32 v[10:11], 0
	s_wait_kmcnt 0x0
	v_mad_u32 v1, s2, s4, v0
	v_cmp_gt_i32_e64 s2, s3, v0
	s_and_saveexec_b32 s4, s2
	s_cbranch_execz .LBB74_2
; %bb.1:
	s_load_b64 s[6:7], s[0:1], 0x10
	s_wait_kmcnt 0x0
	global_load_b128 v[8:11], v1, s[6:7] scale_offset
.LBB74_2:
	s_wait_xcnt 0x0
	s_or_b32 exec_lo, exec_lo, s4
	v_mov_b64_e32 v[6:7], 0
	v_lshlrev_b32_e32 v12, 4, v0
	s_wait_loadcnt 0x0
	ds_store_b128 v12, v[8:11]
	s_and_saveexec_b32 s4, s2
	s_cbranch_execz .LBB74_4
; %bb.3:
	s_load_b64 s[6:7], s[0:1], 0x18
	s_wait_kmcnt 0x0
	global_load_b128 v[4:7], v1, s[6:7] scale_offset
.LBB74_4:
	s_wait_xcnt 0x0
	s_or_b32 exec_lo, exec_lo, s4
	s_load_b64 s[4:5], s[0:1], 0x28
	v_mov_b64_e32 v[2:3], 0
	v_mov_b64_e32 v[8:9], 0
	;; [unrolled: 1-line block ×3, first 2 shown]
	s_wait_loadcnt 0x0
	ds_store_b128 v12, v[4:7] offset:256
	s_and_saveexec_b32 s6, s2
	s_cbranch_execz .LBB74_6
; %bb.5:
	s_wait_xcnt 0x0
	s_load_b64 s[0:1], s[0:1], 0x20
	s_wait_kmcnt 0x0
	global_load_b128 v[8:11], v1, s[0:1] scale_offset
.LBB74_6:
	s_wait_xcnt 0x0
	s_or_b32 exec_lo, exec_lo, s6
	v_mov_b64_e32 v[4:5], 0
	v_or_b32_e32 v7, 0x100, v12
	v_or_b32_e32 v6, 0x200, v12
	s_wait_loadcnt 0x0
	ds_store_b128 v12, v[8:11] offset:512
	s_and_saveexec_b32 s0, s2
	s_cbranch_execz .LBB74_8
; %bb.7:
	s_wait_kmcnt 0x0
	global_load_b128 v[2:5], v1, s[4:5] scale_offset
.LBB74_8:
	s_wait_xcnt 0x0
	s_or_b32 exec_lo, exec_lo, s0
	v_sub_nc_u32_e64 v8, v0, 1 clamp
	s_add_co_i32 s1, s3, -1
	s_wait_loadcnt 0x0
	ds_store_b128 v12, v[2:5] offset:1024
	v_add_min_i32_e64 v14, v0, 1, s1
	s_wait_dscnt 0x0
	v_lshlrev_b32_e32 v13, 4, v8
	; wave barrier
	s_delay_alu instid0(VALU_DEP_2)
	v_lshlrev_b32_e32 v56, 4, v14
	ds_load_b128 v[2:5], v13 offset:256
	ds_load_b128 v[8:11], v13
	ds_load_b128 v[14:17], v56 offset:256
	ds_load_b128 v[18:21], v56
	s_wait_dscnt 0x3
	v_mul_f64_e32 v[38:39], v[4:5], v[4:5]
	s_wait_dscnt 0x1
	v_mul_f64_e32 v[40:41], v[16:17], v[16:17]
	s_delay_alu instid0(VALU_DEP_2) | instskip(NEXT) | instid1(VALU_DEP_2)
	v_fmac_f64_e32 v[38:39], v[2:3], v[2:3]
	v_fmac_f64_e32 v[40:41], v[14:15], v[14:15]
	s_delay_alu instid0(VALU_DEP_2) | instskip(NEXT) | instid1(VALU_DEP_2)
	v_div_scale_f64 v[22:23], null, v[38:39], v[38:39], 1.0
	v_div_scale_f64 v[30:31], null, v[40:41], v[40:41], 1.0
	v_div_scale_f64 v[28:29], vcc_lo, 1.0, v[38:39], 1.0
	v_div_scale_f64 v[34:35], s0, 1.0, v[40:41], 1.0
	s_delay_alu instid0(VALU_DEP_4) | instskip(NEXT) | instid1(VALU_DEP_3)
	v_rcp_f64_e32 v[32:33], v[22:23]
	v_rcp_f64_e32 v[42:43], v[30:31]
	s_delay_alu instid0(TRANS32_DEP_2) | instskip(NEXT) | instid1(TRANS32_DEP_1)
	v_fma_f64 v[24:25], -v[22:23], v[32:33], 1.0
	v_fma_f64 v[26:27], -v[30:31], v[42:43], 1.0
	s_delay_alu instid0(VALU_DEP_2) | instskip(NEXT) | instid1(VALU_DEP_2)
	v_fmac_f64_e32 v[32:33], v[32:33], v[24:25]
	v_fmac_f64_e32 v[42:43], v[42:43], v[26:27]
	s_delay_alu instid0(VALU_DEP_2) | instskip(NEXT) | instid1(VALU_DEP_2)
	v_fma_f64 v[24:25], -v[22:23], v[32:33], 1.0
	v_fma_f64 v[26:27], -v[30:31], v[42:43], 1.0
	s_delay_alu instid0(VALU_DEP_2) | instskip(NEXT) | instid1(VALU_DEP_2)
	v_fmac_f64_e32 v[32:33], v[32:33], v[24:25]
	v_fmac_f64_e32 v[42:43], v[42:43], v[26:27]
	s_delay_alu instid0(VALU_DEP_2) | instskip(NEXT) | instid1(VALU_DEP_2)
	v_mul_f64_e32 v[36:37], v[28:29], v[32:33]
	v_mul_f64_e32 v[44:45], v[34:35], v[42:43]
	s_delay_alu instid0(VALU_DEP_2)
	v_fma_f64 v[46:47], -v[22:23], v[36:37], v[28:29]
	ds_load_b128 v[22:25], v12
	ds_load_b128 v[26:29], v12 offset:1024
	v_fma_f64 v[48:49], -v[30:31], v[44:45], v[34:35]
	s_wait_dscnt 0x1
	v_mul_f64_e64 v[50:51], v[4:5], -v[22:23]
	v_div_fmas_f64 v[46:47], v[46:47], v[32:33], v[36:37]
	ds_load_b128 v[30:33], v6
	ds_load_b128 v[34:37], v7
	s_mov_b32 vcc_lo, s0
	v_div_fmas_f64 v[42:43], v[48:49], v[42:43], v[44:45]
	v_mul_f64_e32 v[44:45], v[4:5], v[24:25]
	s_wait_dscnt 0x1
	v_mul_f64_e64 v[52:53], v[16:17], -v[30:31]
	v_fmac_f64_e32 v[50:51], v[24:25], v[2:3]
	v_div_fixup_f64 v[38:39], v[46:47], v[38:39], 1.0
	v_mul_f64_e32 v[46:47], v[16:17], v[32:33]
	v_div_fixup_f64 v[40:41], v[42:43], v[40:41], 1.0
	v_fmac_f64_e32 v[44:45], v[22:23], v[2:3]
	ds_load_b128 v[2:5], v13 offset:1024
	ds_load_b128 v[22:25], v13 offset:512
	v_sub_nc_u32_e64 v13, v0, 2 clamp
	s_delay_alu instid0(VALU_DEP_1)
	v_lshlrev_b32_e32 v13, 4, v13
	v_fmac_f64_e32 v[52:53], v[32:33], v[14:15]
	v_mul_f64_e32 v[42:43], v[38:39], v[50:51]
	v_fmac_f64_e32 v[46:47], v[30:31], v[14:15]
	ds_load_b128 v[14:17], v56 offset:1024
	ds_load_b128 v[30:33], v56 offset:512
	s_wait_dscnt 0x0
	; wave barrier
	v_mul_f64_e32 v[38:39], v[38:39], v[44:45]
	v_mul_f64_e32 v[48:49], v[40:41], v[52:53]
	v_mul_f64_e64 v[44:45], v[42:43], -v[4:5]
	v_mul_f64_e32 v[50:51], v[42:43], v[2:3]
	v_mul_f64_e64 v[52:53], v[42:43], -v[24:25]
	v_mul_f64_e32 v[54:55], v[42:43], v[22:23]
	v_mul_f64_e32 v[40:41], v[40:41], v[46:47]
	v_mul_f64_e64 v[58:59], v[48:49], -v[16:17]
	v_mul_f64_e32 v[60:61], v[48:49], v[14:15]
	v_mul_f64_e64 v[46:47], v[48:49], -v[20:21]
	v_mul_f64_e32 v[56:57], v[48:49], v[18:19]
	v_fmac_f64_e32 v[44:45], v[2:3], v[38:39]
	v_fmac_f64_e32 v[50:51], v[4:5], v[38:39]
	;; [unrolled: 1-line block ×4, first 2 shown]
	v_mul_f64_e32 v[2:3], v[42:43], v[10:11]
	v_mul_f64_e64 v[4:5], v[42:43], -v[8:9]
	v_mul_f64_e32 v[22:23], v[48:49], v[32:33]
	v_mul_f64_e64 v[24:25], v[48:49], -v[30:31]
	v_fmac_f64_e32 v[58:59], v[14:15], v[40:41]
	v_fmac_f64_e32 v[60:61], v[16:17], v[40:41]
	;; [unrolled: 1-line block ×4, first 2 shown]
	v_add_f64_e64 v[14:15], v[26:27], -v[44:45]
	v_add_f64_e64 v[16:17], v[28:29], -v[50:51]
	;; [unrolled: 1-line block ×4, first 2 shown]
	v_fma_f64 v[2:3], -v[8:9], v[38:39], v[2:3]
	v_fma_f64 v[4:5], -v[10:11], v[38:39], v[4:5]
	;; [unrolled: 1-line block ×4, first 2 shown]
	v_add_f64_e64 v[14:15], v[14:15], -v[58:59]
	v_add_f64_e64 v[16:17], v[16:17], -v[60:61]
	;; [unrolled: 1-line block ×4, first 2 shown]
	ds_store_b128 v12, v[14:17] offset:1024
	ds_store_b128 v12, v[2:5]
	ds_store_b128 v7, v[18:21]
	;; [unrolled: 1-line block ×3, first 2 shown]
	s_wait_dscnt 0x0
	; wave barrier
	ds_load_b128 v[2:5], v13 offset:256
	ds_load_b128 v[8:11], v13
	v_add_min_i32_e64 v14, v0, 2, s1
	s_delay_alu instid0(VALU_DEP_1)
	v_lshlrev_b32_e32 v56, 4, v14
	ds_load_b128 v[14:17], v56 offset:256
	ds_load_b128 v[18:21], v56
	s_wait_dscnt 0x3
	v_mul_f64_e32 v[38:39], v[4:5], v[4:5]
	s_wait_dscnt 0x1
	v_mul_f64_e32 v[40:41], v[16:17], v[16:17]
	s_delay_alu instid0(VALU_DEP_2) | instskip(NEXT) | instid1(VALU_DEP_2)
	v_fmac_f64_e32 v[38:39], v[2:3], v[2:3]
	v_fmac_f64_e32 v[40:41], v[14:15], v[14:15]
	s_delay_alu instid0(VALU_DEP_2) | instskip(SKIP_1) | instid1(VALU_DEP_3)
	v_div_scale_f64 v[22:23], null, v[38:39], v[38:39], 1.0
	v_div_scale_f64 v[28:29], vcc_lo, 1.0, v[38:39], 1.0
	v_div_scale_f64 v[30:31], null, v[40:41], v[40:41], 1.0
	v_div_scale_f64 v[34:35], s0, 1.0, v[40:41], 1.0
	s_delay_alu instid0(VALU_DEP_4) | instskip(NEXT) | instid1(VALU_DEP_2)
	v_rcp_f64_e32 v[32:33], v[22:23]
	v_rcp_f64_e32 v[42:43], v[30:31]
	s_delay_alu instid0(TRANS32_DEP_2) | instskip(NEXT) | instid1(TRANS32_DEP_1)
	v_fma_f64 v[24:25], -v[22:23], v[32:33], 1.0
	v_fma_f64 v[26:27], -v[30:31], v[42:43], 1.0
	s_delay_alu instid0(VALU_DEP_2) | instskip(NEXT) | instid1(VALU_DEP_2)
	v_fmac_f64_e32 v[32:33], v[32:33], v[24:25]
	v_fmac_f64_e32 v[42:43], v[42:43], v[26:27]
	s_delay_alu instid0(VALU_DEP_2) | instskip(NEXT) | instid1(VALU_DEP_2)
	v_fma_f64 v[24:25], -v[22:23], v[32:33], 1.0
	v_fma_f64 v[26:27], -v[30:31], v[42:43], 1.0
	s_delay_alu instid0(VALU_DEP_2) | instskip(NEXT) | instid1(VALU_DEP_2)
	v_fmac_f64_e32 v[32:33], v[32:33], v[24:25]
	v_fmac_f64_e32 v[42:43], v[42:43], v[26:27]
	s_delay_alu instid0(VALU_DEP_2) | instskip(NEXT) | instid1(VALU_DEP_2)
	v_mul_f64_e32 v[36:37], v[28:29], v[32:33]
	v_mul_f64_e32 v[44:45], v[34:35], v[42:43]
	s_delay_alu instid0(VALU_DEP_2)
	v_fma_f64 v[46:47], -v[22:23], v[36:37], v[28:29]
	ds_load_b128 v[22:25], v12
	ds_load_b128 v[26:29], v12 offset:1024
	v_fma_f64 v[48:49], -v[30:31], v[44:45], v[34:35]
	s_wait_dscnt 0x1
	v_mul_f64_e64 v[50:51], v[4:5], -v[22:23]
	v_div_fmas_f64 v[46:47], v[46:47], v[32:33], v[36:37]
	ds_load_b128 v[30:33], v6
	ds_load_b128 v[34:37], v7
	s_mov_b32 vcc_lo, s0
	v_div_fmas_f64 v[42:43], v[48:49], v[42:43], v[44:45]
	v_mul_f64_e32 v[44:45], v[4:5], v[24:25]
	s_wait_dscnt 0x1
	v_mul_f64_e64 v[52:53], v[16:17], -v[30:31]
	v_fmac_f64_e32 v[50:51], v[24:25], v[2:3]
	v_div_fixup_f64 v[38:39], v[46:47], v[38:39], 1.0
	v_mul_f64_e32 v[46:47], v[16:17], v[32:33]
	v_div_fixup_f64 v[40:41], v[42:43], v[40:41], 1.0
	v_fmac_f64_e32 v[44:45], v[22:23], v[2:3]
	ds_load_b128 v[2:5], v13 offset:1024
	ds_load_b128 v[22:25], v13 offset:512
	v_sub_nc_u32_e64 v13, v0, 4 clamp
	s_delay_alu instid0(VALU_DEP_1)
	v_lshlrev_b32_e32 v13, 4, v13
	v_fmac_f64_e32 v[52:53], v[32:33], v[14:15]
	v_mul_f64_e32 v[42:43], v[38:39], v[50:51]
	v_fmac_f64_e32 v[46:47], v[30:31], v[14:15]
	ds_load_b128 v[14:17], v56 offset:1024
	ds_load_b128 v[30:33], v56 offset:512
	s_wait_dscnt 0x0
	; wave barrier
	v_mul_f64_e32 v[38:39], v[38:39], v[44:45]
	v_mul_f64_e32 v[48:49], v[40:41], v[52:53]
	v_mul_f64_e64 v[44:45], v[42:43], -v[4:5]
	v_mul_f64_e32 v[50:51], v[42:43], v[2:3]
	v_mul_f64_e64 v[52:53], v[42:43], -v[24:25]
	v_mul_f64_e32 v[54:55], v[42:43], v[22:23]
	v_mul_f64_e32 v[40:41], v[40:41], v[46:47]
	v_mul_f64_e64 v[58:59], v[48:49], -v[16:17]
	v_mul_f64_e32 v[60:61], v[48:49], v[14:15]
	v_mul_f64_e64 v[46:47], v[48:49], -v[20:21]
	v_mul_f64_e32 v[56:57], v[48:49], v[18:19]
	v_fmac_f64_e32 v[44:45], v[2:3], v[38:39]
	v_fmac_f64_e32 v[50:51], v[4:5], v[38:39]
	v_fmac_f64_e32 v[52:53], v[22:23], v[38:39]
	v_fmac_f64_e32 v[54:55], v[24:25], v[38:39]
	v_mul_f64_e32 v[2:3], v[42:43], v[10:11]
	v_mul_f64_e64 v[4:5], v[42:43], -v[8:9]
	v_mul_f64_e32 v[22:23], v[48:49], v[32:33]
	v_mul_f64_e64 v[24:25], v[48:49], -v[30:31]
	v_fmac_f64_e32 v[58:59], v[14:15], v[40:41]
	v_fmac_f64_e32 v[60:61], v[16:17], v[40:41]
	;; [unrolled: 1-line block ×4, first 2 shown]
	v_add_f64_e64 v[14:15], v[26:27], -v[44:45]
	v_add_f64_e64 v[16:17], v[28:29], -v[50:51]
	v_add_f64_e64 v[18:19], v[34:35], -v[52:53]
	v_add_f64_e64 v[20:21], v[36:37], -v[54:55]
	v_fma_f64 v[2:3], -v[8:9], v[38:39], v[2:3]
	v_fma_f64 v[4:5], -v[10:11], v[38:39], v[4:5]
	;; [unrolled: 1-line block ×4, first 2 shown]
	v_add_f64_e64 v[14:15], v[14:15], -v[58:59]
	v_add_f64_e64 v[16:17], v[16:17], -v[60:61]
	;; [unrolled: 1-line block ×4, first 2 shown]
	ds_store_b128 v12, v[14:17] offset:1024
	ds_store_b128 v12, v[2:5]
	ds_store_b128 v7, v[18:21]
	ds_store_b128 v6, v[8:11]
	s_wait_dscnt 0x0
	; wave barrier
	ds_load_b128 v[2:5], v13 offset:256
	ds_load_b128 v[8:11], v13
	v_add_min_i32_e64 v14, v0, 4, s1
	s_delay_alu instid0(VALU_DEP_1)
	v_lshlrev_b32_e32 v56, 4, v14
	ds_load_b128 v[14:17], v56 offset:256
	ds_load_b128 v[18:21], v56
	s_wait_dscnt 0x3
	v_mul_f64_e32 v[38:39], v[4:5], v[4:5]
	s_wait_dscnt 0x1
	v_mul_f64_e32 v[40:41], v[16:17], v[16:17]
	s_delay_alu instid0(VALU_DEP_2) | instskip(NEXT) | instid1(VALU_DEP_2)
	v_fmac_f64_e32 v[38:39], v[2:3], v[2:3]
	v_fmac_f64_e32 v[40:41], v[14:15], v[14:15]
	s_delay_alu instid0(VALU_DEP_2) | instskip(SKIP_1) | instid1(VALU_DEP_3)
	v_div_scale_f64 v[22:23], null, v[38:39], v[38:39], 1.0
	v_div_scale_f64 v[28:29], vcc_lo, 1.0, v[38:39], 1.0
	v_div_scale_f64 v[30:31], null, v[40:41], v[40:41], 1.0
	v_div_scale_f64 v[34:35], s0, 1.0, v[40:41], 1.0
	s_delay_alu instid0(VALU_DEP_4) | instskip(NEXT) | instid1(VALU_DEP_2)
	v_rcp_f64_e32 v[32:33], v[22:23]
	v_rcp_f64_e32 v[42:43], v[30:31]
	s_delay_alu instid0(TRANS32_DEP_2) | instskip(NEXT) | instid1(TRANS32_DEP_1)
	v_fma_f64 v[24:25], -v[22:23], v[32:33], 1.0
	v_fma_f64 v[26:27], -v[30:31], v[42:43], 1.0
	s_delay_alu instid0(VALU_DEP_2) | instskip(NEXT) | instid1(VALU_DEP_2)
	v_fmac_f64_e32 v[32:33], v[32:33], v[24:25]
	v_fmac_f64_e32 v[42:43], v[42:43], v[26:27]
	s_delay_alu instid0(VALU_DEP_2) | instskip(NEXT) | instid1(VALU_DEP_2)
	v_fma_f64 v[24:25], -v[22:23], v[32:33], 1.0
	v_fma_f64 v[26:27], -v[30:31], v[42:43], 1.0
	s_delay_alu instid0(VALU_DEP_2) | instskip(NEXT) | instid1(VALU_DEP_2)
	v_fmac_f64_e32 v[32:33], v[32:33], v[24:25]
	v_fmac_f64_e32 v[42:43], v[42:43], v[26:27]
	s_delay_alu instid0(VALU_DEP_2) | instskip(NEXT) | instid1(VALU_DEP_2)
	v_mul_f64_e32 v[36:37], v[28:29], v[32:33]
	v_mul_f64_e32 v[44:45], v[34:35], v[42:43]
	s_delay_alu instid0(VALU_DEP_2)
	v_fma_f64 v[46:47], -v[22:23], v[36:37], v[28:29]
	ds_load_b128 v[22:25], v12
	ds_load_b128 v[26:29], v12 offset:1024
	v_fma_f64 v[48:49], -v[30:31], v[44:45], v[34:35]
	s_wait_dscnt 0x1
	v_mul_f64_e64 v[50:51], v[4:5], -v[22:23]
	v_div_fmas_f64 v[46:47], v[46:47], v[32:33], v[36:37]
	ds_load_b128 v[30:33], v6
	ds_load_b128 v[34:37], v7
	s_mov_b32 vcc_lo, s0
	s_mov_b32 s0, exec_lo
	v_div_fmas_f64 v[42:43], v[48:49], v[42:43], v[44:45]
	v_mul_f64_e32 v[44:45], v[4:5], v[24:25]
	s_wait_dscnt 0x1
	v_mul_f64_e64 v[52:53], v[16:17], -v[30:31]
	v_fmac_f64_e32 v[50:51], v[24:25], v[2:3]
	v_div_fixup_f64 v[38:39], v[46:47], v[38:39], 1.0
	v_mul_f64_e32 v[46:47], v[16:17], v[32:33]
	v_div_fixup_f64 v[40:41], v[42:43], v[40:41], 1.0
	v_fmac_f64_e32 v[44:45], v[22:23], v[2:3]
	ds_load_b128 v[2:5], v13 offset:1024
	ds_load_b128 v[22:25], v13 offset:512
	v_fmac_f64_e32 v[52:53], v[32:33], v[14:15]
	v_mul_f64_e32 v[42:43], v[38:39], v[50:51]
	v_fmac_f64_e32 v[46:47], v[30:31], v[14:15]
	ds_load_b128 v[14:17], v56 offset:1024
	ds_load_b128 v[30:33], v56 offset:512
	s_wait_dscnt 0x0
	; wave barrier
	v_mul_f64_e32 v[38:39], v[38:39], v[44:45]
	v_mul_f64_e32 v[48:49], v[40:41], v[52:53]
	v_mul_f64_e64 v[44:45], v[42:43], -v[4:5]
	v_mul_f64_e32 v[50:51], v[42:43], v[2:3]
	v_mul_f64_e64 v[52:53], v[42:43], -v[24:25]
	v_mul_f64_e32 v[54:55], v[42:43], v[22:23]
	v_mul_f64_e32 v[40:41], v[40:41], v[46:47]
	v_mul_f64_e64 v[58:59], v[48:49], -v[16:17]
	v_mul_f64_e32 v[60:61], v[48:49], v[14:15]
	v_mul_f64_e64 v[46:47], v[48:49], -v[20:21]
	v_mul_f64_e32 v[56:57], v[48:49], v[18:19]
	v_fmac_f64_e32 v[44:45], v[2:3], v[38:39]
	v_fmac_f64_e32 v[50:51], v[4:5], v[38:39]
	;; [unrolled: 1-line block ×4, first 2 shown]
	v_mul_f64_e32 v[2:3], v[42:43], v[10:11]
	v_mul_f64_e64 v[4:5], v[42:43], -v[8:9]
	v_mul_f64_e32 v[22:23], v[48:49], v[32:33]
	v_mul_f64_e64 v[24:25], v[48:49], -v[30:31]
	v_fmac_f64_e32 v[58:59], v[14:15], v[40:41]
	v_fmac_f64_e32 v[60:61], v[16:17], v[40:41]
	;; [unrolled: 1-line block ×4, first 2 shown]
	v_add_f64_e64 v[14:15], v[26:27], -v[44:45]
	v_add_f64_e64 v[16:17], v[28:29], -v[50:51]
	;; [unrolled: 1-line block ×4, first 2 shown]
	v_fma_f64 v[2:3], -v[8:9], v[38:39], v[2:3]
	v_fma_f64 v[4:5], -v[10:11], v[38:39], v[4:5]
	;; [unrolled: 1-line block ×4, first 2 shown]
	v_add_f64_e64 v[14:15], v[14:15], -v[58:59]
	v_add_f64_e64 v[16:17], v[16:17], -v[60:61]
	;; [unrolled: 1-line block ×4, first 2 shown]
	ds_store_b128 v12, v[14:17] offset:1024
	ds_store_b128 v12, v[2:5]
	ds_store_b128 v7, v[18:21]
	;; [unrolled: 1-line block ×3, first 2 shown]
	s_wait_dscnt 0x0
	; wave barrier
	v_cmpx_gt_u32_e32 8, v0
	s_cbranch_execz .LBB74_14
; %bb.9:
	v_or_b32_e32 v8, 8, v0
	v_or_b32_e32 v9, 0x400, v12
	s_mov_b32 s1, exec_lo
                                        ; implicit-def: $vgpr4_vgpr5
	s_delay_alu instid0(VALU_DEP_2)
	v_cmpx_le_i32_e64 s3, v8
	s_xor_b32 s1, exec_lo, s1
	s_cbranch_execz .LBB74_11
; %bb.10:
	ds_load_b128 v[2:5], v7
	ds_load_b128 v[6:9], v9
	s_wait_dscnt 0x1
	v_mul_f64_e32 v[10:11], v[4:5], v[4:5]
	s_delay_alu instid0(VALU_DEP_1) | instskip(NEXT) | instid1(VALU_DEP_1)
	v_fmac_f64_e32 v[10:11], v[2:3], v[2:3]
	v_div_scale_f64 v[14:15], null, v[10:11], v[10:11], 1.0
	v_div_scale_f64 v[20:21], vcc_lo, 1.0, v[10:11], 1.0
	s_delay_alu instid0(VALU_DEP_2) | instskip(SKIP_1) | instid1(TRANS32_DEP_1)
	v_rcp_f64_e32 v[16:17], v[14:15]
	v_nop
	v_fma_f64 v[18:19], -v[14:15], v[16:17], 1.0
	s_delay_alu instid0(VALU_DEP_1) | instskip(NEXT) | instid1(VALU_DEP_1)
	v_fmac_f64_e32 v[16:17], v[16:17], v[18:19]
	v_fma_f64 v[18:19], -v[14:15], v[16:17], 1.0
	s_delay_alu instid0(VALU_DEP_1) | instskip(NEXT) | instid1(VALU_DEP_1)
	v_fmac_f64_e32 v[16:17], v[16:17], v[18:19]
	v_mul_f64_e32 v[18:19], v[20:21], v[16:17]
	s_delay_alu instid0(VALU_DEP_1) | instskip(SKIP_3) | instid1(VALU_DEP_3)
	v_fma_f64 v[14:15], -v[14:15], v[18:19], v[20:21]
	s_wait_dscnt 0x0
	v_mul_f64_e32 v[20:21], v[4:5], v[8:9]
	v_mul_f64_e64 v[4:5], v[4:5], -v[6:7]
	v_div_fmas_f64 v[14:15], v[14:15], v[16:17], v[18:19]
	s_delay_alu instid0(VALU_DEP_3) | instskip(NEXT) | instid1(VALU_DEP_3)
	v_fmac_f64_e32 v[20:21], v[6:7], v[2:3]
	v_fmac_f64_e32 v[4:5], v[8:9], v[2:3]
                                        ; implicit-def: $vgpr9
                                        ; implicit-def: $vgpr8
	s_delay_alu instid0(VALU_DEP_3) | instskip(NEXT) | instid1(VALU_DEP_1)
	v_div_fixup_f64 v[6:7], v[14:15], v[10:11], 1.0
	v_mul_f64_e32 v[2:3], v[6:7], v[20:21]
	s_delay_alu instid0(VALU_DEP_3)
	v_mul_f64_e32 v[4:5], v[6:7], v[4:5]
                                        ; implicit-def: $vgpr7
                                        ; implicit-def: $vgpr6
.LBB74_11:
	s_and_not1_saveexec_b32 s1, s1
	s_cbranch_execz .LBB74_13
; %bb.12:
	ds_load_b128 v[2:5], v7
	ds_load_b128 v[14:17], v12 offset:128
	ds_load_b128 v[18:21], v7 offset:128
	ds_load_b128 v[22:25], v6
	v_mov_b32_e32 v0, v8
	s_wait_dscnt 0x1
	v_mul_f64_e32 v[6:7], v[4:5], v[18:19]
	s_wait_dscnt 0x0
	v_mul_f64_e32 v[10:11], v[16:17], v[22:23]
	v_mul_f64_e64 v[26:27], v[4:5], -v[20:21]
	v_mul_f64_e64 v[28:29], v[16:17], -v[24:25]
	s_delay_alu instid0(VALU_DEP_4) | instskip(NEXT) | instid1(VALU_DEP_4)
	v_fmac_f64_e32 v[6:7], v[20:21], v[2:3]
	v_fmac_f64_e32 v[10:11], v[24:25], v[14:15]
	s_delay_alu instid0(VALU_DEP_4) | instskip(NEXT) | instid1(VALU_DEP_4)
	v_fmac_f64_e32 v[26:27], v[18:19], v[2:3]
	v_fmac_f64_e32 v[28:29], v[22:23], v[14:15]
	s_delay_alu instid0(VALU_DEP_3) | instskip(NEXT) | instid1(VALU_DEP_2)
	v_add_f64_e64 v[6:7], v[6:7], -v[10:11]
	v_add_f64_e64 v[10:11], v[26:27], -v[28:29]
	s_delay_alu instid0(VALU_DEP_2) | instskip(NEXT) | instid1(VALU_DEP_1)
	v_mul_f64_e32 v[34:35], v[6:7], v[6:7]
	v_fmac_f64_e32 v[34:35], v[10:11], v[10:11]
	s_delay_alu instid0(VALU_DEP_1) | instskip(SKIP_1) | instid1(VALU_DEP_2)
	v_div_scale_f64 v[26:27], null, v[34:35], v[34:35], 1.0
	v_div_scale_f64 v[30:31], vcc_lo, 1.0, v[34:35], 1.0
	v_rcp_f64_e32 v[36:37], v[26:27]
	v_nop
	s_delay_alu instid0(TRANS32_DEP_1) | instskip(NEXT) | instid1(VALU_DEP_1)
	v_fma_f64 v[28:29], -v[26:27], v[36:37], 1.0
	v_fmac_f64_e32 v[36:37], v[36:37], v[28:29]
	s_delay_alu instid0(VALU_DEP_1) | instskip(NEXT) | instid1(VALU_DEP_1)
	v_fma_f64 v[28:29], -v[26:27], v[36:37], 1.0
	v_fmac_f64_e32 v[36:37], v[36:37], v[28:29]
	s_delay_alu instid0(VALU_DEP_1) | instskip(NEXT) | instid1(VALU_DEP_1)
	v_mul_f64_e32 v[38:39], v[30:31], v[36:37]
	v_fma_f64 v[40:41], -v[26:27], v[38:39], v[30:31]
	ds_load_b128 v[26:29], v9
	ds_load_b128 v[30:33], v9 offset:128
	s_wait_dscnt 0x1
	v_mul_f64_e64 v[42:43], v[28:29], -v[20:21]
	v_mul_f64_e32 v[44:45], v[18:19], v[28:29]
	s_wait_dscnt 0x0
	v_mul_f64_e64 v[46:47], v[32:33], -v[24:25]
	v_mul_f64_e32 v[48:49], v[22:23], v[32:33]
	v_mul_f64_e64 v[50:51], v[4:5], -v[32:33]
	v_mul_f64_e32 v[4:5], v[4:5], v[30:31]
	v_div_fmas_f64 v[36:37], v[40:41], v[36:37], v[38:39]
	v_mul_f64_e32 v[38:39], v[16:17], v[26:27]
	v_mul_f64_e64 v[16:17], v[16:17], -v[28:29]
	v_fmac_f64_e32 v[42:43], v[18:19], v[26:27]
	v_fmac_f64_e32 v[44:45], v[20:21], v[26:27]
	;; [unrolled: 1-line block ×5, first 2 shown]
	v_fma_f64 v[18:19], v[10:11], 0, -v[6:7]
	v_fmac_f64_e32 v[4:5], v[32:33], v[2:3]
	v_fma_f64 v[2:3], 0, v[6:7], v[10:11]
	v_div_fixup_f64 v[20:21], v[36:37], v[34:35], 1.0
	v_fmac_f64_e32 v[38:39], v[28:29], v[14:15]
	v_fmac_f64_e32 v[16:17], v[26:27], v[14:15]
	v_add_f64_e64 v[10:11], v[42:43], -v[46:47]
	v_add_f64_e64 v[22:23], v[44:45], -v[48:49]
	v_mul_f64_e32 v[6:7], v[18:19], v[20:21]
	v_add_f64_e64 v[18:19], v[4:5], -v[38:39]
	v_add_f64_e64 v[24:25], v[50:51], -v[16:17]
	v_mul_f64_e32 v[20:21], v[2:3], v[20:21]
	s_delay_alu instid0(VALU_DEP_4) | instskip(SKIP_3) | instid1(VALU_DEP_4)
	v_mul_f64_e64 v[14:15], v[6:7], -v[22:23]
	v_mul_f64_e32 v[16:17], v[6:7], v[10:11]
	v_mul_f64_e64 v[2:3], v[6:7], -v[18:19]
	v_mul_f64_e32 v[4:5], v[6:7], v[24:25]
	v_fmac_f64_e32 v[14:15], v[10:11], v[20:21]
	s_delay_alu instid0(VALU_DEP_4) | instskip(NEXT) | instid1(VALU_DEP_4)
	v_fmac_f64_e32 v[16:17], v[22:23], v[20:21]
	v_fmac_f64_e32 v[2:3], v[24:25], v[20:21]
	s_delay_alu instid0(VALU_DEP_4)
	v_fmac_f64_e32 v[4:5], v[18:19], v[20:21]
	ds_store_b128 v12, v[14:17] offset:768
.LBB74_13:
	s_or_b32 exec_lo, exec_lo, s1
	v_lshlrev_b32_e32 v0, 4, v0
	ds_store_b128 v0, v[2:5] offset:768
.LBB74_14:
	s_or_b32 exec_lo, exec_lo, s0
	s_wait_dscnt 0x0
	; wave barrier
	s_and_saveexec_b32 s0, s2
	s_cbranch_execz .LBB74_16
; %bb.15:
	ds_load_2addr_b64 v[2:5], v12 offset0:96 offset1:97
	s_wait_dscnt 0x0
	s_wait_kmcnt 0x0
	global_store_b128 v1, v[2:5], s[4:5] scale_offset
.LBB74_16:
	s_endpgm
	.section	.rodata,"a",@progbits
	.p2align	6, 0x0
	.amdhsa_kernel _ZN9rocsparseL44gtsv_nopivot_strided_batch_pcr_shared_kernelILj16E21rocsparse_complex_numIdEEEviiiPKT0_S5_S5_PS3_
		.amdhsa_group_segment_fixed_size 1280
		.amdhsa_private_segment_fixed_size 0
		.amdhsa_kernarg_size 48
		.amdhsa_user_sgpr_count 2
		.amdhsa_user_sgpr_dispatch_ptr 0
		.amdhsa_user_sgpr_queue_ptr 0
		.amdhsa_user_sgpr_kernarg_segment_ptr 1
		.amdhsa_user_sgpr_dispatch_id 0
		.amdhsa_user_sgpr_kernarg_preload_length 0
		.amdhsa_user_sgpr_kernarg_preload_offset 0
		.amdhsa_user_sgpr_private_segment_size 0
		.amdhsa_wavefront_size32 1
		.amdhsa_uses_dynamic_stack 0
		.amdhsa_enable_private_segment 0
		.amdhsa_system_sgpr_workgroup_id_x 1
		.amdhsa_system_sgpr_workgroup_id_y 0
		.amdhsa_system_sgpr_workgroup_id_z 0
		.amdhsa_system_sgpr_workgroup_info 0
		.amdhsa_system_vgpr_workitem_id 0
		.amdhsa_next_free_vgpr 62
		.amdhsa_next_free_sgpr 8
		.amdhsa_named_barrier_count 0
		.amdhsa_reserve_vcc 1
		.amdhsa_float_round_mode_32 0
		.amdhsa_float_round_mode_16_64 0
		.amdhsa_float_denorm_mode_32 3
		.amdhsa_float_denorm_mode_16_64 3
		.amdhsa_fp16_overflow 0
		.amdhsa_memory_ordered 1
		.amdhsa_forward_progress 1
		.amdhsa_inst_pref_size 24
		.amdhsa_round_robin_scheduling 0
		.amdhsa_exception_fp_ieee_invalid_op 0
		.amdhsa_exception_fp_denorm_src 0
		.amdhsa_exception_fp_ieee_div_zero 0
		.amdhsa_exception_fp_ieee_overflow 0
		.amdhsa_exception_fp_ieee_underflow 0
		.amdhsa_exception_fp_ieee_inexact 0
		.amdhsa_exception_int_div_zero 0
	.end_amdhsa_kernel
	.section	.text._ZN9rocsparseL44gtsv_nopivot_strided_batch_pcr_shared_kernelILj16E21rocsparse_complex_numIdEEEviiiPKT0_S5_S5_PS3_,"axG",@progbits,_ZN9rocsparseL44gtsv_nopivot_strided_batch_pcr_shared_kernelILj16E21rocsparse_complex_numIdEEEviiiPKT0_S5_S5_PS3_,comdat
.Lfunc_end74:
	.size	_ZN9rocsparseL44gtsv_nopivot_strided_batch_pcr_shared_kernelILj16E21rocsparse_complex_numIdEEEviiiPKT0_S5_S5_PS3_, .Lfunc_end74-_ZN9rocsparseL44gtsv_nopivot_strided_batch_pcr_shared_kernelILj16E21rocsparse_complex_numIdEEEviiiPKT0_S5_S5_PS3_
                                        ; -- End function
	.set _ZN9rocsparseL44gtsv_nopivot_strided_batch_pcr_shared_kernelILj16E21rocsparse_complex_numIdEEEviiiPKT0_S5_S5_PS3_.num_vgpr, 62
	.set _ZN9rocsparseL44gtsv_nopivot_strided_batch_pcr_shared_kernelILj16E21rocsparse_complex_numIdEEEviiiPKT0_S5_S5_PS3_.num_agpr, 0
	.set _ZN9rocsparseL44gtsv_nopivot_strided_batch_pcr_shared_kernelILj16E21rocsparse_complex_numIdEEEviiiPKT0_S5_S5_PS3_.numbered_sgpr, 8
	.set _ZN9rocsparseL44gtsv_nopivot_strided_batch_pcr_shared_kernelILj16E21rocsparse_complex_numIdEEEviiiPKT0_S5_S5_PS3_.num_named_barrier, 0
	.set _ZN9rocsparseL44gtsv_nopivot_strided_batch_pcr_shared_kernelILj16E21rocsparse_complex_numIdEEEviiiPKT0_S5_S5_PS3_.private_seg_size, 0
	.set _ZN9rocsparseL44gtsv_nopivot_strided_batch_pcr_shared_kernelILj16E21rocsparse_complex_numIdEEEviiiPKT0_S5_S5_PS3_.uses_vcc, 1
	.set _ZN9rocsparseL44gtsv_nopivot_strided_batch_pcr_shared_kernelILj16E21rocsparse_complex_numIdEEEviiiPKT0_S5_S5_PS3_.uses_flat_scratch, 0
	.set _ZN9rocsparseL44gtsv_nopivot_strided_batch_pcr_shared_kernelILj16E21rocsparse_complex_numIdEEEviiiPKT0_S5_S5_PS3_.has_dyn_sized_stack, 0
	.set _ZN9rocsparseL44gtsv_nopivot_strided_batch_pcr_shared_kernelILj16E21rocsparse_complex_numIdEEEviiiPKT0_S5_S5_PS3_.has_recursion, 0
	.set _ZN9rocsparseL44gtsv_nopivot_strided_batch_pcr_shared_kernelILj16E21rocsparse_complex_numIdEEEviiiPKT0_S5_S5_PS3_.has_indirect_call, 0
	.section	.AMDGPU.csdata,"",@progbits
; Kernel info:
; codeLenInByte = 2988
; TotalNumSgprs: 10
; NumVgprs: 62
; ScratchSize: 0
; MemoryBound: 1
; FloatMode: 240
; IeeeMode: 1
; LDSByteSize: 1280 bytes/workgroup (compile time only)
; SGPRBlocks: 0
; VGPRBlocks: 3
; NumSGPRsForWavesPerEU: 10
; NumVGPRsForWavesPerEU: 62
; NamedBarCnt: 0
; Occupancy: 16
; WaveLimiterHint : 0
; COMPUTE_PGM_RSRC2:SCRATCH_EN: 0
; COMPUTE_PGM_RSRC2:USER_SGPR: 2
; COMPUTE_PGM_RSRC2:TRAP_HANDLER: 0
; COMPUTE_PGM_RSRC2:TGID_X_EN: 1
; COMPUTE_PGM_RSRC2:TGID_Y_EN: 0
; COMPUTE_PGM_RSRC2:TGID_Z_EN: 0
; COMPUTE_PGM_RSRC2:TIDIG_COMP_CNT: 0
	.section	.text._ZN9rocsparseL44gtsv_nopivot_strided_batch_pcr_shared_kernelILj32E21rocsparse_complex_numIdEEEviiiPKT0_S5_S5_PS3_,"axG",@progbits,_ZN9rocsparseL44gtsv_nopivot_strided_batch_pcr_shared_kernelILj32E21rocsparse_complex_numIdEEEviiiPKT0_S5_S5_PS3_,comdat
	.globl	_ZN9rocsparseL44gtsv_nopivot_strided_batch_pcr_shared_kernelILj32E21rocsparse_complex_numIdEEEviiiPKT0_S5_S5_PS3_ ; -- Begin function _ZN9rocsparseL44gtsv_nopivot_strided_batch_pcr_shared_kernelILj32E21rocsparse_complex_numIdEEEviiiPKT0_S5_S5_PS3_
	.p2align	8
	.type	_ZN9rocsparseL44gtsv_nopivot_strided_batch_pcr_shared_kernelILj32E21rocsparse_complex_numIdEEEviiiPKT0_S5_S5_PS3_,@function
_ZN9rocsparseL44gtsv_nopivot_strided_batch_pcr_shared_kernelILj32E21rocsparse_complex_numIdEEEviiiPKT0_S5_S5_PS3_: ; @_ZN9rocsparseL44gtsv_nopivot_strided_batch_pcr_shared_kernelILj32E21rocsparse_complex_numIdEEEviiiPKT0_S5_S5_PS3_
; %bb.0:
	s_clause 0x1
	s_load_b32 s2, s[0:1], 0x8
	s_load_b32 s3, s[0:1], 0x0
	s_bfe_u32 s4, ttmp6, 0x4000c
	s_and_b32 s5, ttmp6, 15
	s_add_co_i32 s4, s4, 1
	s_getreg_b32 s6, hwreg(HW_REG_IB_STS2, 6, 4)
	s_mul_i32 s4, ttmp9, s4
	v_mov_b64_e32 v[4:5], 0
	s_add_co_i32 s5, s5, s4
	s_cmp_eq_u32 s6, 0
	v_mov_b64_e32 v[8:9], 0
	s_cselect_b32 s4, ttmp9, s5
	v_mov_b64_e32 v[10:11], 0
	s_wait_kmcnt 0x0
	v_mad_u32 v1, s2, s4, v0
	v_cmp_gt_i32_e64 s2, s3, v0
	s_and_saveexec_b32 s4, s2
	s_cbranch_execz .LBB75_2
; %bb.1:
	s_load_b64 s[6:7], s[0:1], 0x10
	s_wait_kmcnt 0x0
	global_load_b128 v[8:11], v1, s[6:7] scale_offset
.LBB75_2:
	s_wait_xcnt 0x0
	s_or_b32 exec_lo, exec_lo, s4
	v_mov_b64_e32 v[6:7], 0
	v_lshlrev_b32_e32 v12, 4, v0
	s_wait_loadcnt 0x0
	ds_store_b128 v12, v[8:11]
	s_and_saveexec_b32 s4, s2
	s_cbranch_execz .LBB75_4
; %bb.3:
	s_load_b64 s[6:7], s[0:1], 0x18
	s_wait_kmcnt 0x0
	global_load_b128 v[4:7], v1, s[6:7] scale_offset
.LBB75_4:
	s_wait_xcnt 0x0
	s_or_b32 exec_lo, exec_lo, s4
	s_load_b64 s[4:5], s[0:1], 0x28
	v_mov_b64_e32 v[2:3], 0
	v_mov_b64_e32 v[8:9], 0
	;; [unrolled: 1-line block ×3, first 2 shown]
	s_wait_loadcnt 0x0
	ds_store_b128 v12, v[4:7] offset:512
	s_and_saveexec_b32 s6, s2
	s_cbranch_execz .LBB75_6
; %bb.5:
	s_wait_xcnt 0x0
	s_load_b64 s[0:1], s[0:1], 0x20
	s_wait_kmcnt 0x0
	global_load_b128 v[8:11], v1, s[0:1] scale_offset
.LBB75_6:
	s_wait_xcnt 0x0
	s_or_b32 exec_lo, exec_lo, s6
	v_mov_b64_e32 v[4:5], 0
	v_or_b32_e32 v7, 0x200, v12
	v_or_b32_e32 v6, 0x400, v12
	s_wait_loadcnt 0x0
	ds_store_b128 v12, v[8:11] offset:1024
	s_and_saveexec_b32 s0, s2
	s_cbranch_execz .LBB75_8
; %bb.7:
	s_wait_kmcnt 0x0
	global_load_b128 v[2:5], v1, s[4:5] scale_offset
.LBB75_8:
	s_wait_xcnt 0x0
	s_or_b32 exec_lo, exec_lo, s0
	v_sub_nc_u32_e64 v8, v0, 1 clamp
	s_add_co_i32 s1, s3, -1
	s_wait_loadcnt 0x0
	ds_store_b128 v12, v[2:5] offset:2048
	v_add_min_i32_e64 v14, v0, 1, s1
	s_wait_dscnt 0x0
	v_lshlrev_b32_e32 v13, 4, v8
	; wave barrier
	s_delay_alu instid0(VALU_DEP_2)
	v_lshlrev_b32_e32 v56, 4, v14
	ds_load_b128 v[2:5], v13 offset:512
	ds_load_b128 v[8:11], v13
	ds_load_b128 v[14:17], v56 offset:512
	ds_load_b128 v[18:21], v56
	s_wait_dscnt 0x3
	v_mul_f64_e32 v[38:39], v[4:5], v[4:5]
	s_wait_dscnt 0x1
	v_mul_f64_e32 v[40:41], v[16:17], v[16:17]
	s_delay_alu instid0(VALU_DEP_2) | instskip(NEXT) | instid1(VALU_DEP_2)
	v_fmac_f64_e32 v[38:39], v[2:3], v[2:3]
	v_fmac_f64_e32 v[40:41], v[14:15], v[14:15]
	s_delay_alu instid0(VALU_DEP_2) | instskip(NEXT) | instid1(VALU_DEP_2)
	v_div_scale_f64 v[22:23], null, v[38:39], v[38:39], 1.0
	v_div_scale_f64 v[30:31], null, v[40:41], v[40:41], 1.0
	v_div_scale_f64 v[28:29], vcc_lo, 1.0, v[38:39], 1.0
	v_div_scale_f64 v[34:35], s0, 1.0, v[40:41], 1.0
	s_delay_alu instid0(VALU_DEP_4) | instskip(NEXT) | instid1(VALU_DEP_3)
	v_rcp_f64_e32 v[32:33], v[22:23]
	v_rcp_f64_e32 v[42:43], v[30:31]
	s_delay_alu instid0(TRANS32_DEP_2) | instskip(NEXT) | instid1(TRANS32_DEP_1)
	v_fma_f64 v[24:25], -v[22:23], v[32:33], 1.0
	v_fma_f64 v[26:27], -v[30:31], v[42:43], 1.0
	s_delay_alu instid0(VALU_DEP_2) | instskip(NEXT) | instid1(VALU_DEP_2)
	v_fmac_f64_e32 v[32:33], v[32:33], v[24:25]
	v_fmac_f64_e32 v[42:43], v[42:43], v[26:27]
	s_delay_alu instid0(VALU_DEP_2) | instskip(NEXT) | instid1(VALU_DEP_2)
	v_fma_f64 v[24:25], -v[22:23], v[32:33], 1.0
	v_fma_f64 v[26:27], -v[30:31], v[42:43], 1.0
	s_delay_alu instid0(VALU_DEP_2) | instskip(NEXT) | instid1(VALU_DEP_2)
	v_fmac_f64_e32 v[32:33], v[32:33], v[24:25]
	v_fmac_f64_e32 v[42:43], v[42:43], v[26:27]
	s_delay_alu instid0(VALU_DEP_2) | instskip(NEXT) | instid1(VALU_DEP_2)
	v_mul_f64_e32 v[36:37], v[28:29], v[32:33]
	v_mul_f64_e32 v[44:45], v[34:35], v[42:43]
	s_delay_alu instid0(VALU_DEP_2)
	v_fma_f64 v[46:47], -v[22:23], v[36:37], v[28:29]
	ds_load_b128 v[22:25], v12
	ds_load_b128 v[26:29], v12 offset:2048
	v_fma_f64 v[48:49], -v[30:31], v[44:45], v[34:35]
	s_wait_dscnt 0x1
	v_mul_f64_e64 v[50:51], v[4:5], -v[22:23]
	v_div_fmas_f64 v[46:47], v[46:47], v[32:33], v[36:37]
	ds_load_b128 v[30:33], v6
	ds_load_b128 v[34:37], v7
	s_mov_b32 vcc_lo, s0
	v_div_fmas_f64 v[42:43], v[48:49], v[42:43], v[44:45]
	v_mul_f64_e32 v[44:45], v[4:5], v[24:25]
	s_wait_dscnt 0x1
	v_mul_f64_e64 v[52:53], v[16:17], -v[30:31]
	v_fmac_f64_e32 v[50:51], v[24:25], v[2:3]
	v_div_fixup_f64 v[38:39], v[46:47], v[38:39], 1.0
	v_mul_f64_e32 v[46:47], v[16:17], v[32:33]
	v_div_fixup_f64 v[40:41], v[42:43], v[40:41], 1.0
	v_fmac_f64_e32 v[44:45], v[22:23], v[2:3]
	ds_load_b128 v[2:5], v13 offset:2048
	ds_load_b128 v[22:25], v13 offset:1024
	v_sub_nc_u32_e64 v13, v0, 2 clamp
	s_delay_alu instid0(VALU_DEP_1)
	v_lshlrev_b32_e32 v13, 4, v13
	v_fmac_f64_e32 v[52:53], v[32:33], v[14:15]
	v_mul_f64_e32 v[42:43], v[38:39], v[50:51]
	v_fmac_f64_e32 v[46:47], v[30:31], v[14:15]
	ds_load_b128 v[14:17], v56 offset:2048
	ds_load_b128 v[30:33], v56 offset:1024
	s_wait_dscnt 0x0
	; wave barrier
	v_mul_f64_e32 v[38:39], v[38:39], v[44:45]
	v_mul_f64_e32 v[48:49], v[40:41], v[52:53]
	v_mul_f64_e64 v[44:45], v[42:43], -v[4:5]
	v_mul_f64_e32 v[50:51], v[42:43], v[2:3]
	v_mul_f64_e64 v[52:53], v[42:43], -v[24:25]
	v_mul_f64_e32 v[54:55], v[42:43], v[22:23]
	v_mul_f64_e32 v[40:41], v[40:41], v[46:47]
	v_mul_f64_e64 v[58:59], v[48:49], -v[16:17]
	v_mul_f64_e32 v[60:61], v[48:49], v[14:15]
	v_mul_f64_e64 v[46:47], v[48:49], -v[20:21]
	v_mul_f64_e32 v[56:57], v[48:49], v[18:19]
	v_fmac_f64_e32 v[44:45], v[2:3], v[38:39]
	v_fmac_f64_e32 v[50:51], v[4:5], v[38:39]
	;; [unrolled: 1-line block ×4, first 2 shown]
	v_mul_f64_e32 v[2:3], v[42:43], v[10:11]
	v_mul_f64_e64 v[4:5], v[42:43], -v[8:9]
	v_mul_f64_e32 v[22:23], v[48:49], v[32:33]
	v_mul_f64_e64 v[24:25], v[48:49], -v[30:31]
	v_fmac_f64_e32 v[58:59], v[14:15], v[40:41]
	v_fmac_f64_e32 v[60:61], v[16:17], v[40:41]
	;; [unrolled: 1-line block ×4, first 2 shown]
	v_add_f64_e64 v[14:15], v[26:27], -v[44:45]
	v_add_f64_e64 v[16:17], v[28:29], -v[50:51]
	v_add_f64_e64 v[18:19], v[34:35], -v[52:53]
	v_add_f64_e64 v[20:21], v[36:37], -v[54:55]
	v_fma_f64 v[2:3], -v[8:9], v[38:39], v[2:3]
	v_fma_f64 v[4:5], -v[10:11], v[38:39], v[4:5]
	;; [unrolled: 1-line block ×4, first 2 shown]
	v_add_f64_e64 v[14:15], v[14:15], -v[58:59]
	v_add_f64_e64 v[16:17], v[16:17], -v[60:61]
	;; [unrolled: 1-line block ×4, first 2 shown]
	ds_store_b128 v12, v[14:17] offset:2048
	ds_store_b128 v12, v[2:5]
	ds_store_b128 v7, v[18:21]
	;; [unrolled: 1-line block ×3, first 2 shown]
	s_wait_dscnt 0x0
	; wave barrier
	ds_load_b128 v[2:5], v13 offset:512
	ds_load_b128 v[8:11], v13
	v_add_min_i32_e64 v14, v0, 2, s1
	s_delay_alu instid0(VALU_DEP_1)
	v_lshlrev_b32_e32 v56, 4, v14
	ds_load_b128 v[14:17], v56 offset:512
	ds_load_b128 v[18:21], v56
	s_wait_dscnt 0x3
	v_mul_f64_e32 v[38:39], v[4:5], v[4:5]
	s_wait_dscnt 0x1
	v_mul_f64_e32 v[40:41], v[16:17], v[16:17]
	s_delay_alu instid0(VALU_DEP_2) | instskip(NEXT) | instid1(VALU_DEP_2)
	v_fmac_f64_e32 v[38:39], v[2:3], v[2:3]
	v_fmac_f64_e32 v[40:41], v[14:15], v[14:15]
	s_delay_alu instid0(VALU_DEP_2) | instskip(SKIP_1) | instid1(VALU_DEP_3)
	v_div_scale_f64 v[22:23], null, v[38:39], v[38:39], 1.0
	v_div_scale_f64 v[28:29], vcc_lo, 1.0, v[38:39], 1.0
	v_div_scale_f64 v[30:31], null, v[40:41], v[40:41], 1.0
	v_div_scale_f64 v[34:35], s0, 1.0, v[40:41], 1.0
	s_delay_alu instid0(VALU_DEP_4) | instskip(NEXT) | instid1(VALU_DEP_2)
	v_rcp_f64_e32 v[32:33], v[22:23]
	v_rcp_f64_e32 v[42:43], v[30:31]
	s_delay_alu instid0(TRANS32_DEP_2) | instskip(NEXT) | instid1(TRANS32_DEP_1)
	v_fma_f64 v[24:25], -v[22:23], v[32:33], 1.0
	v_fma_f64 v[26:27], -v[30:31], v[42:43], 1.0
	s_delay_alu instid0(VALU_DEP_2) | instskip(NEXT) | instid1(VALU_DEP_2)
	v_fmac_f64_e32 v[32:33], v[32:33], v[24:25]
	v_fmac_f64_e32 v[42:43], v[42:43], v[26:27]
	s_delay_alu instid0(VALU_DEP_2) | instskip(NEXT) | instid1(VALU_DEP_2)
	v_fma_f64 v[24:25], -v[22:23], v[32:33], 1.0
	v_fma_f64 v[26:27], -v[30:31], v[42:43], 1.0
	s_delay_alu instid0(VALU_DEP_2) | instskip(NEXT) | instid1(VALU_DEP_2)
	v_fmac_f64_e32 v[32:33], v[32:33], v[24:25]
	v_fmac_f64_e32 v[42:43], v[42:43], v[26:27]
	s_delay_alu instid0(VALU_DEP_2) | instskip(NEXT) | instid1(VALU_DEP_2)
	v_mul_f64_e32 v[36:37], v[28:29], v[32:33]
	v_mul_f64_e32 v[44:45], v[34:35], v[42:43]
	s_delay_alu instid0(VALU_DEP_2)
	v_fma_f64 v[46:47], -v[22:23], v[36:37], v[28:29]
	ds_load_b128 v[22:25], v12
	ds_load_b128 v[26:29], v12 offset:2048
	v_fma_f64 v[48:49], -v[30:31], v[44:45], v[34:35]
	s_wait_dscnt 0x1
	v_mul_f64_e64 v[50:51], v[4:5], -v[22:23]
	v_div_fmas_f64 v[46:47], v[46:47], v[32:33], v[36:37]
	ds_load_b128 v[30:33], v6
	ds_load_b128 v[34:37], v7
	s_mov_b32 vcc_lo, s0
	v_div_fmas_f64 v[42:43], v[48:49], v[42:43], v[44:45]
	v_mul_f64_e32 v[44:45], v[4:5], v[24:25]
	s_wait_dscnt 0x1
	v_mul_f64_e64 v[52:53], v[16:17], -v[30:31]
	v_fmac_f64_e32 v[50:51], v[24:25], v[2:3]
	v_div_fixup_f64 v[38:39], v[46:47], v[38:39], 1.0
	v_mul_f64_e32 v[46:47], v[16:17], v[32:33]
	v_div_fixup_f64 v[40:41], v[42:43], v[40:41], 1.0
	v_fmac_f64_e32 v[44:45], v[22:23], v[2:3]
	ds_load_b128 v[2:5], v13 offset:2048
	ds_load_b128 v[22:25], v13 offset:1024
	v_sub_nc_u32_e64 v13, v0, 4 clamp
	s_delay_alu instid0(VALU_DEP_1)
	v_lshlrev_b32_e32 v13, 4, v13
	v_fmac_f64_e32 v[52:53], v[32:33], v[14:15]
	v_mul_f64_e32 v[42:43], v[38:39], v[50:51]
	v_fmac_f64_e32 v[46:47], v[30:31], v[14:15]
	ds_load_b128 v[14:17], v56 offset:2048
	ds_load_b128 v[30:33], v56 offset:1024
	s_wait_dscnt 0x0
	; wave barrier
	v_mul_f64_e32 v[38:39], v[38:39], v[44:45]
	v_mul_f64_e32 v[48:49], v[40:41], v[52:53]
	v_mul_f64_e64 v[44:45], v[42:43], -v[4:5]
	v_mul_f64_e32 v[50:51], v[42:43], v[2:3]
	v_mul_f64_e64 v[52:53], v[42:43], -v[24:25]
	v_mul_f64_e32 v[54:55], v[42:43], v[22:23]
	v_mul_f64_e32 v[40:41], v[40:41], v[46:47]
	v_mul_f64_e64 v[58:59], v[48:49], -v[16:17]
	v_mul_f64_e32 v[60:61], v[48:49], v[14:15]
	v_mul_f64_e64 v[46:47], v[48:49], -v[20:21]
	v_mul_f64_e32 v[56:57], v[48:49], v[18:19]
	v_fmac_f64_e32 v[44:45], v[2:3], v[38:39]
	v_fmac_f64_e32 v[50:51], v[4:5], v[38:39]
	;; [unrolled: 1-line block ×4, first 2 shown]
	v_mul_f64_e32 v[2:3], v[42:43], v[10:11]
	v_mul_f64_e64 v[4:5], v[42:43], -v[8:9]
	v_mul_f64_e32 v[22:23], v[48:49], v[32:33]
	v_mul_f64_e64 v[24:25], v[48:49], -v[30:31]
	v_fmac_f64_e32 v[58:59], v[14:15], v[40:41]
	v_fmac_f64_e32 v[60:61], v[16:17], v[40:41]
	;; [unrolled: 1-line block ×4, first 2 shown]
	v_add_f64_e64 v[14:15], v[26:27], -v[44:45]
	v_add_f64_e64 v[16:17], v[28:29], -v[50:51]
	;; [unrolled: 1-line block ×4, first 2 shown]
	v_fma_f64 v[2:3], -v[8:9], v[38:39], v[2:3]
	v_fma_f64 v[4:5], -v[10:11], v[38:39], v[4:5]
	;; [unrolled: 1-line block ×4, first 2 shown]
	v_add_f64_e64 v[14:15], v[14:15], -v[58:59]
	v_add_f64_e64 v[16:17], v[16:17], -v[60:61]
	v_add_f64_e64 v[18:19], v[18:19], -v[46:47]
	v_add_f64_e64 v[20:21], v[20:21], -v[56:57]
	ds_store_b128 v12, v[14:17] offset:2048
	ds_store_b128 v12, v[2:5]
	ds_store_b128 v7, v[18:21]
	;; [unrolled: 1-line block ×3, first 2 shown]
	s_wait_dscnt 0x0
	; wave barrier
	ds_load_b128 v[2:5], v13 offset:512
	ds_load_b128 v[8:11], v13
	v_add_min_i32_e64 v14, v0, 4, s1
	s_delay_alu instid0(VALU_DEP_1)
	v_lshlrev_b32_e32 v56, 4, v14
	ds_load_b128 v[14:17], v56 offset:512
	ds_load_b128 v[18:21], v56
	s_wait_dscnt 0x3
	v_mul_f64_e32 v[38:39], v[4:5], v[4:5]
	s_wait_dscnt 0x1
	v_mul_f64_e32 v[40:41], v[16:17], v[16:17]
	s_delay_alu instid0(VALU_DEP_2) | instskip(NEXT) | instid1(VALU_DEP_2)
	v_fmac_f64_e32 v[38:39], v[2:3], v[2:3]
	v_fmac_f64_e32 v[40:41], v[14:15], v[14:15]
	s_delay_alu instid0(VALU_DEP_2) | instskip(SKIP_1) | instid1(VALU_DEP_3)
	v_div_scale_f64 v[22:23], null, v[38:39], v[38:39], 1.0
	v_div_scale_f64 v[28:29], vcc_lo, 1.0, v[38:39], 1.0
	v_div_scale_f64 v[30:31], null, v[40:41], v[40:41], 1.0
	v_div_scale_f64 v[34:35], s0, 1.0, v[40:41], 1.0
	s_delay_alu instid0(VALU_DEP_4) | instskip(NEXT) | instid1(VALU_DEP_2)
	v_rcp_f64_e32 v[32:33], v[22:23]
	v_rcp_f64_e32 v[42:43], v[30:31]
	s_delay_alu instid0(TRANS32_DEP_2) | instskip(NEXT) | instid1(TRANS32_DEP_1)
	v_fma_f64 v[24:25], -v[22:23], v[32:33], 1.0
	v_fma_f64 v[26:27], -v[30:31], v[42:43], 1.0
	s_delay_alu instid0(VALU_DEP_2) | instskip(NEXT) | instid1(VALU_DEP_2)
	v_fmac_f64_e32 v[32:33], v[32:33], v[24:25]
	v_fmac_f64_e32 v[42:43], v[42:43], v[26:27]
	s_delay_alu instid0(VALU_DEP_2) | instskip(NEXT) | instid1(VALU_DEP_2)
	v_fma_f64 v[24:25], -v[22:23], v[32:33], 1.0
	v_fma_f64 v[26:27], -v[30:31], v[42:43], 1.0
	s_delay_alu instid0(VALU_DEP_2) | instskip(NEXT) | instid1(VALU_DEP_2)
	v_fmac_f64_e32 v[32:33], v[32:33], v[24:25]
	v_fmac_f64_e32 v[42:43], v[42:43], v[26:27]
	s_delay_alu instid0(VALU_DEP_2) | instskip(NEXT) | instid1(VALU_DEP_2)
	v_mul_f64_e32 v[36:37], v[28:29], v[32:33]
	v_mul_f64_e32 v[44:45], v[34:35], v[42:43]
	s_delay_alu instid0(VALU_DEP_2)
	v_fma_f64 v[46:47], -v[22:23], v[36:37], v[28:29]
	ds_load_b128 v[22:25], v12
	ds_load_b128 v[26:29], v12 offset:2048
	v_fma_f64 v[48:49], -v[30:31], v[44:45], v[34:35]
	s_wait_dscnt 0x1
	v_mul_f64_e64 v[50:51], v[4:5], -v[22:23]
	v_div_fmas_f64 v[46:47], v[46:47], v[32:33], v[36:37]
	ds_load_b128 v[30:33], v6
	ds_load_b128 v[34:37], v7
	s_mov_b32 vcc_lo, s0
	v_div_fmas_f64 v[42:43], v[48:49], v[42:43], v[44:45]
	v_mul_f64_e32 v[44:45], v[4:5], v[24:25]
	s_wait_dscnt 0x1
	v_mul_f64_e64 v[52:53], v[16:17], -v[30:31]
	v_fmac_f64_e32 v[50:51], v[24:25], v[2:3]
	v_div_fixup_f64 v[38:39], v[46:47], v[38:39], 1.0
	v_mul_f64_e32 v[46:47], v[16:17], v[32:33]
	v_div_fixup_f64 v[40:41], v[42:43], v[40:41], 1.0
	v_fmac_f64_e32 v[44:45], v[22:23], v[2:3]
	ds_load_b128 v[2:5], v13 offset:2048
	ds_load_b128 v[22:25], v13 offset:1024
	v_sub_nc_u32_e64 v13, v0, 8 clamp
	s_delay_alu instid0(VALU_DEP_1)
	v_lshlrev_b32_e32 v13, 4, v13
	v_fmac_f64_e32 v[52:53], v[32:33], v[14:15]
	v_mul_f64_e32 v[42:43], v[38:39], v[50:51]
	v_fmac_f64_e32 v[46:47], v[30:31], v[14:15]
	ds_load_b128 v[14:17], v56 offset:2048
	ds_load_b128 v[30:33], v56 offset:1024
	s_wait_dscnt 0x0
	; wave barrier
	v_mul_f64_e32 v[38:39], v[38:39], v[44:45]
	v_mul_f64_e32 v[48:49], v[40:41], v[52:53]
	v_mul_f64_e64 v[44:45], v[42:43], -v[4:5]
	v_mul_f64_e32 v[50:51], v[42:43], v[2:3]
	v_mul_f64_e64 v[52:53], v[42:43], -v[24:25]
	v_mul_f64_e32 v[54:55], v[42:43], v[22:23]
	v_mul_f64_e32 v[40:41], v[40:41], v[46:47]
	v_mul_f64_e64 v[58:59], v[48:49], -v[16:17]
	v_mul_f64_e32 v[60:61], v[48:49], v[14:15]
	v_mul_f64_e64 v[46:47], v[48:49], -v[20:21]
	v_mul_f64_e32 v[56:57], v[48:49], v[18:19]
	v_fmac_f64_e32 v[44:45], v[2:3], v[38:39]
	v_fmac_f64_e32 v[50:51], v[4:5], v[38:39]
	;; [unrolled: 1-line block ×4, first 2 shown]
	v_mul_f64_e32 v[2:3], v[42:43], v[10:11]
	v_mul_f64_e64 v[4:5], v[42:43], -v[8:9]
	v_mul_f64_e32 v[22:23], v[48:49], v[32:33]
	v_mul_f64_e64 v[24:25], v[48:49], -v[30:31]
	v_fmac_f64_e32 v[58:59], v[14:15], v[40:41]
	v_fmac_f64_e32 v[60:61], v[16:17], v[40:41]
	;; [unrolled: 1-line block ×4, first 2 shown]
	v_add_f64_e64 v[14:15], v[26:27], -v[44:45]
	v_add_f64_e64 v[16:17], v[28:29], -v[50:51]
	;; [unrolled: 1-line block ×4, first 2 shown]
	v_fma_f64 v[2:3], -v[8:9], v[38:39], v[2:3]
	v_fma_f64 v[4:5], -v[10:11], v[38:39], v[4:5]
	;; [unrolled: 1-line block ×4, first 2 shown]
	v_add_f64_e64 v[14:15], v[14:15], -v[58:59]
	v_add_f64_e64 v[16:17], v[16:17], -v[60:61]
	;; [unrolled: 1-line block ×4, first 2 shown]
	ds_store_b128 v12, v[14:17] offset:2048
	ds_store_b128 v12, v[2:5]
	ds_store_b128 v7, v[18:21]
	;; [unrolled: 1-line block ×3, first 2 shown]
	s_wait_dscnt 0x0
	; wave barrier
	ds_load_b128 v[2:5], v13 offset:512
	ds_load_b128 v[8:11], v13
	v_add_min_i32_e64 v14, v0, 8, s1
	s_delay_alu instid0(VALU_DEP_1)
	v_lshlrev_b32_e32 v56, 4, v14
	ds_load_b128 v[14:17], v56 offset:512
	ds_load_b128 v[18:21], v56
	s_wait_dscnt 0x3
	v_mul_f64_e32 v[38:39], v[4:5], v[4:5]
	s_wait_dscnt 0x1
	v_mul_f64_e32 v[40:41], v[16:17], v[16:17]
	s_delay_alu instid0(VALU_DEP_2) | instskip(NEXT) | instid1(VALU_DEP_2)
	v_fmac_f64_e32 v[38:39], v[2:3], v[2:3]
	v_fmac_f64_e32 v[40:41], v[14:15], v[14:15]
	s_delay_alu instid0(VALU_DEP_2) | instskip(SKIP_1) | instid1(VALU_DEP_3)
	v_div_scale_f64 v[22:23], null, v[38:39], v[38:39], 1.0
	v_div_scale_f64 v[28:29], vcc_lo, 1.0, v[38:39], 1.0
	v_div_scale_f64 v[30:31], null, v[40:41], v[40:41], 1.0
	v_div_scale_f64 v[34:35], s0, 1.0, v[40:41], 1.0
	s_delay_alu instid0(VALU_DEP_4) | instskip(NEXT) | instid1(VALU_DEP_2)
	v_rcp_f64_e32 v[32:33], v[22:23]
	v_rcp_f64_e32 v[42:43], v[30:31]
	s_delay_alu instid0(TRANS32_DEP_2) | instskip(NEXT) | instid1(TRANS32_DEP_1)
	v_fma_f64 v[24:25], -v[22:23], v[32:33], 1.0
	v_fma_f64 v[26:27], -v[30:31], v[42:43], 1.0
	s_delay_alu instid0(VALU_DEP_2) | instskip(NEXT) | instid1(VALU_DEP_2)
	v_fmac_f64_e32 v[32:33], v[32:33], v[24:25]
	v_fmac_f64_e32 v[42:43], v[42:43], v[26:27]
	s_delay_alu instid0(VALU_DEP_2) | instskip(NEXT) | instid1(VALU_DEP_2)
	v_fma_f64 v[24:25], -v[22:23], v[32:33], 1.0
	v_fma_f64 v[26:27], -v[30:31], v[42:43], 1.0
	s_delay_alu instid0(VALU_DEP_2) | instskip(NEXT) | instid1(VALU_DEP_2)
	v_fmac_f64_e32 v[32:33], v[32:33], v[24:25]
	v_fmac_f64_e32 v[42:43], v[42:43], v[26:27]
	s_delay_alu instid0(VALU_DEP_2) | instskip(NEXT) | instid1(VALU_DEP_2)
	v_mul_f64_e32 v[36:37], v[28:29], v[32:33]
	v_mul_f64_e32 v[44:45], v[34:35], v[42:43]
	s_delay_alu instid0(VALU_DEP_2)
	v_fma_f64 v[46:47], -v[22:23], v[36:37], v[28:29]
	ds_load_b128 v[22:25], v12
	ds_load_b128 v[26:29], v12 offset:2048
	v_fma_f64 v[48:49], -v[30:31], v[44:45], v[34:35]
	s_wait_dscnt 0x1
	v_mul_f64_e64 v[50:51], v[4:5], -v[22:23]
	v_div_fmas_f64 v[46:47], v[46:47], v[32:33], v[36:37]
	ds_load_b128 v[30:33], v6
	ds_load_b128 v[34:37], v7
	s_mov_b32 vcc_lo, s0
	s_mov_b32 s0, exec_lo
	v_div_fmas_f64 v[42:43], v[48:49], v[42:43], v[44:45]
	v_mul_f64_e32 v[44:45], v[4:5], v[24:25]
	s_wait_dscnt 0x1
	v_mul_f64_e64 v[52:53], v[16:17], -v[30:31]
	v_fmac_f64_e32 v[50:51], v[24:25], v[2:3]
	v_div_fixup_f64 v[38:39], v[46:47], v[38:39], 1.0
	v_mul_f64_e32 v[46:47], v[16:17], v[32:33]
	v_div_fixup_f64 v[40:41], v[42:43], v[40:41], 1.0
	v_fmac_f64_e32 v[44:45], v[22:23], v[2:3]
	ds_load_b128 v[2:5], v13 offset:2048
	ds_load_b128 v[22:25], v13 offset:1024
	v_fmac_f64_e32 v[52:53], v[32:33], v[14:15]
	v_mul_f64_e32 v[42:43], v[38:39], v[50:51]
	v_fmac_f64_e32 v[46:47], v[30:31], v[14:15]
	ds_load_b128 v[14:17], v56 offset:2048
	ds_load_b128 v[30:33], v56 offset:1024
	s_wait_dscnt 0x0
	; wave barrier
	v_mul_f64_e32 v[38:39], v[38:39], v[44:45]
	v_mul_f64_e32 v[48:49], v[40:41], v[52:53]
	v_mul_f64_e64 v[44:45], v[42:43], -v[4:5]
	v_mul_f64_e32 v[50:51], v[42:43], v[2:3]
	v_mul_f64_e64 v[52:53], v[42:43], -v[24:25]
	v_mul_f64_e32 v[54:55], v[42:43], v[22:23]
	v_mul_f64_e32 v[40:41], v[40:41], v[46:47]
	v_mul_f64_e64 v[58:59], v[48:49], -v[16:17]
	v_mul_f64_e32 v[60:61], v[48:49], v[14:15]
	v_mul_f64_e64 v[46:47], v[48:49], -v[20:21]
	v_mul_f64_e32 v[56:57], v[48:49], v[18:19]
	v_fmac_f64_e32 v[44:45], v[2:3], v[38:39]
	v_fmac_f64_e32 v[50:51], v[4:5], v[38:39]
	;; [unrolled: 1-line block ×4, first 2 shown]
	v_mul_f64_e32 v[2:3], v[42:43], v[10:11]
	v_mul_f64_e64 v[4:5], v[42:43], -v[8:9]
	v_mul_f64_e32 v[22:23], v[48:49], v[32:33]
	v_mul_f64_e64 v[24:25], v[48:49], -v[30:31]
	v_fmac_f64_e32 v[58:59], v[14:15], v[40:41]
	v_fmac_f64_e32 v[60:61], v[16:17], v[40:41]
	;; [unrolled: 1-line block ×4, first 2 shown]
	v_add_f64_e64 v[14:15], v[26:27], -v[44:45]
	v_add_f64_e64 v[16:17], v[28:29], -v[50:51]
	;; [unrolled: 1-line block ×4, first 2 shown]
	v_fma_f64 v[2:3], -v[8:9], v[38:39], v[2:3]
	v_fma_f64 v[4:5], -v[10:11], v[38:39], v[4:5]
	;; [unrolled: 1-line block ×4, first 2 shown]
	v_add_f64_e64 v[14:15], v[14:15], -v[58:59]
	v_add_f64_e64 v[16:17], v[16:17], -v[60:61]
	;; [unrolled: 1-line block ×4, first 2 shown]
	ds_store_b128 v12, v[14:17] offset:2048
	ds_store_b128 v12, v[2:5]
	ds_store_b128 v7, v[18:21]
	;; [unrolled: 1-line block ×3, first 2 shown]
	s_wait_dscnt 0x0
	; wave barrier
	v_cmpx_gt_u32_e32 16, v0
	s_cbranch_execz .LBB75_14
; %bb.9:
	v_or_b32_e32 v8, 16, v0
	v_or_b32_e32 v9, 0x800, v12
	s_mov_b32 s1, exec_lo
                                        ; implicit-def: $vgpr4_vgpr5
	s_delay_alu instid0(VALU_DEP_2)
	v_cmpx_le_i32_e64 s3, v8
	s_xor_b32 s1, exec_lo, s1
	s_cbranch_execz .LBB75_11
; %bb.10:
	ds_load_b128 v[2:5], v7
	ds_load_b128 v[6:9], v9
	s_wait_dscnt 0x1
	v_mul_f64_e32 v[10:11], v[4:5], v[4:5]
	s_delay_alu instid0(VALU_DEP_1) | instskip(NEXT) | instid1(VALU_DEP_1)
	v_fmac_f64_e32 v[10:11], v[2:3], v[2:3]
	v_div_scale_f64 v[14:15], null, v[10:11], v[10:11], 1.0
	v_div_scale_f64 v[20:21], vcc_lo, 1.0, v[10:11], 1.0
	s_delay_alu instid0(VALU_DEP_2) | instskip(SKIP_1) | instid1(TRANS32_DEP_1)
	v_rcp_f64_e32 v[16:17], v[14:15]
	v_nop
	v_fma_f64 v[18:19], -v[14:15], v[16:17], 1.0
	s_delay_alu instid0(VALU_DEP_1) | instskip(NEXT) | instid1(VALU_DEP_1)
	v_fmac_f64_e32 v[16:17], v[16:17], v[18:19]
	v_fma_f64 v[18:19], -v[14:15], v[16:17], 1.0
	s_delay_alu instid0(VALU_DEP_1) | instskip(NEXT) | instid1(VALU_DEP_1)
	v_fmac_f64_e32 v[16:17], v[16:17], v[18:19]
	v_mul_f64_e32 v[18:19], v[20:21], v[16:17]
	s_delay_alu instid0(VALU_DEP_1) | instskip(SKIP_3) | instid1(VALU_DEP_3)
	v_fma_f64 v[14:15], -v[14:15], v[18:19], v[20:21]
	s_wait_dscnt 0x0
	v_mul_f64_e32 v[20:21], v[4:5], v[8:9]
	v_mul_f64_e64 v[4:5], v[4:5], -v[6:7]
	v_div_fmas_f64 v[14:15], v[14:15], v[16:17], v[18:19]
	s_delay_alu instid0(VALU_DEP_3) | instskip(NEXT) | instid1(VALU_DEP_3)
	v_fmac_f64_e32 v[20:21], v[6:7], v[2:3]
	v_fmac_f64_e32 v[4:5], v[8:9], v[2:3]
                                        ; implicit-def: $vgpr9
                                        ; implicit-def: $vgpr8
	s_delay_alu instid0(VALU_DEP_3) | instskip(NEXT) | instid1(VALU_DEP_1)
	v_div_fixup_f64 v[6:7], v[14:15], v[10:11], 1.0
	v_mul_f64_e32 v[2:3], v[6:7], v[20:21]
	s_delay_alu instid0(VALU_DEP_3)
	v_mul_f64_e32 v[4:5], v[6:7], v[4:5]
                                        ; implicit-def: $vgpr7
                                        ; implicit-def: $vgpr6
.LBB75_11:
	s_and_not1_saveexec_b32 s1, s1
	s_cbranch_execz .LBB75_13
; %bb.12:
	ds_load_b128 v[2:5], v7
	ds_load_b128 v[14:17], v12 offset:256
	ds_load_b128 v[18:21], v7 offset:256
	ds_load_b128 v[22:25], v6
	v_mov_b32_e32 v0, v8
	s_wait_dscnt 0x1
	v_mul_f64_e32 v[6:7], v[4:5], v[18:19]
	s_wait_dscnt 0x0
	v_mul_f64_e32 v[10:11], v[16:17], v[22:23]
	v_mul_f64_e64 v[26:27], v[4:5], -v[20:21]
	v_mul_f64_e64 v[28:29], v[16:17], -v[24:25]
	s_delay_alu instid0(VALU_DEP_4) | instskip(NEXT) | instid1(VALU_DEP_4)
	v_fmac_f64_e32 v[6:7], v[20:21], v[2:3]
	v_fmac_f64_e32 v[10:11], v[24:25], v[14:15]
	s_delay_alu instid0(VALU_DEP_4) | instskip(NEXT) | instid1(VALU_DEP_4)
	v_fmac_f64_e32 v[26:27], v[18:19], v[2:3]
	v_fmac_f64_e32 v[28:29], v[22:23], v[14:15]
	s_delay_alu instid0(VALU_DEP_3) | instskip(NEXT) | instid1(VALU_DEP_2)
	v_add_f64_e64 v[6:7], v[6:7], -v[10:11]
	v_add_f64_e64 v[10:11], v[26:27], -v[28:29]
	s_delay_alu instid0(VALU_DEP_2) | instskip(NEXT) | instid1(VALU_DEP_1)
	v_mul_f64_e32 v[34:35], v[6:7], v[6:7]
	v_fmac_f64_e32 v[34:35], v[10:11], v[10:11]
	s_delay_alu instid0(VALU_DEP_1) | instskip(SKIP_1) | instid1(VALU_DEP_2)
	v_div_scale_f64 v[26:27], null, v[34:35], v[34:35], 1.0
	v_div_scale_f64 v[30:31], vcc_lo, 1.0, v[34:35], 1.0
	v_rcp_f64_e32 v[36:37], v[26:27]
	v_nop
	s_delay_alu instid0(TRANS32_DEP_1) | instskip(NEXT) | instid1(VALU_DEP_1)
	v_fma_f64 v[28:29], -v[26:27], v[36:37], 1.0
	v_fmac_f64_e32 v[36:37], v[36:37], v[28:29]
	s_delay_alu instid0(VALU_DEP_1) | instskip(NEXT) | instid1(VALU_DEP_1)
	v_fma_f64 v[28:29], -v[26:27], v[36:37], 1.0
	v_fmac_f64_e32 v[36:37], v[36:37], v[28:29]
	s_delay_alu instid0(VALU_DEP_1) | instskip(NEXT) | instid1(VALU_DEP_1)
	v_mul_f64_e32 v[38:39], v[30:31], v[36:37]
	v_fma_f64 v[40:41], -v[26:27], v[38:39], v[30:31]
	ds_load_b128 v[26:29], v9
	ds_load_b128 v[30:33], v9 offset:256
	s_wait_dscnt 0x1
	v_mul_f64_e64 v[42:43], v[28:29], -v[20:21]
	v_mul_f64_e32 v[44:45], v[18:19], v[28:29]
	s_wait_dscnt 0x0
	v_mul_f64_e64 v[46:47], v[32:33], -v[24:25]
	v_mul_f64_e32 v[48:49], v[22:23], v[32:33]
	v_mul_f64_e64 v[50:51], v[4:5], -v[32:33]
	v_mul_f64_e32 v[4:5], v[4:5], v[30:31]
	v_div_fmas_f64 v[36:37], v[40:41], v[36:37], v[38:39]
	v_mul_f64_e32 v[38:39], v[16:17], v[26:27]
	v_mul_f64_e64 v[16:17], v[16:17], -v[28:29]
	v_fmac_f64_e32 v[42:43], v[18:19], v[26:27]
	v_fmac_f64_e32 v[44:45], v[20:21], v[26:27]
	;; [unrolled: 1-line block ×5, first 2 shown]
	v_fma_f64 v[18:19], v[10:11], 0, -v[6:7]
	v_fmac_f64_e32 v[4:5], v[32:33], v[2:3]
	v_fma_f64 v[2:3], 0, v[6:7], v[10:11]
	v_div_fixup_f64 v[20:21], v[36:37], v[34:35], 1.0
	v_fmac_f64_e32 v[38:39], v[28:29], v[14:15]
	v_fmac_f64_e32 v[16:17], v[26:27], v[14:15]
	v_add_f64_e64 v[10:11], v[42:43], -v[46:47]
	v_add_f64_e64 v[22:23], v[44:45], -v[48:49]
	v_mul_f64_e32 v[6:7], v[18:19], v[20:21]
	v_add_f64_e64 v[18:19], v[4:5], -v[38:39]
	v_add_f64_e64 v[24:25], v[50:51], -v[16:17]
	v_mul_f64_e32 v[20:21], v[2:3], v[20:21]
	s_delay_alu instid0(VALU_DEP_4) | instskip(SKIP_3) | instid1(VALU_DEP_4)
	v_mul_f64_e64 v[14:15], v[6:7], -v[22:23]
	v_mul_f64_e32 v[16:17], v[6:7], v[10:11]
	v_mul_f64_e64 v[2:3], v[6:7], -v[18:19]
	v_mul_f64_e32 v[4:5], v[6:7], v[24:25]
	v_fmac_f64_e32 v[14:15], v[10:11], v[20:21]
	s_delay_alu instid0(VALU_DEP_4) | instskip(NEXT) | instid1(VALU_DEP_4)
	v_fmac_f64_e32 v[16:17], v[22:23], v[20:21]
	v_fmac_f64_e32 v[2:3], v[24:25], v[20:21]
	s_delay_alu instid0(VALU_DEP_4)
	v_fmac_f64_e32 v[4:5], v[18:19], v[20:21]
	ds_store_b128 v12, v[14:17] offset:1536
.LBB75_13:
	s_or_b32 exec_lo, exec_lo, s1
	v_lshlrev_b32_e32 v0, 4, v0
	ds_store_b128 v0, v[2:5] offset:1536
.LBB75_14:
	s_or_b32 exec_lo, exec_lo, s0
	s_wait_dscnt 0x0
	; wave barrier
	s_and_saveexec_b32 s0, s2
	s_cbranch_execz .LBB75_16
; %bb.15:
	ds_load_2addr_b64 v[2:5], v12 offset0:192 offset1:193
	s_wait_dscnt 0x0
	s_wait_kmcnt 0x0
	global_store_b128 v1, v[2:5], s[4:5] scale_offset
.LBB75_16:
	s_endpgm
	.section	.rodata,"a",@progbits
	.p2align	6, 0x0
	.amdhsa_kernel _ZN9rocsparseL44gtsv_nopivot_strided_batch_pcr_shared_kernelILj32E21rocsparse_complex_numIdEEEviiiPKT0_S5_S5_PS3_
		.amdhsa_group_segment_fixed_size 2560
		.amdhsa_private_segment_fixed_size 0
		.amdhsa_kernarg_size 48
		.amdhsa_user_sgpr_count 2
		.amdhsa_user_sgpr_dispatch_ptr 0
		.amdhsa_user_sgpr_queue_ptr 0
		.amdhsa_user_sgpr_kernarg_segment_ptr 1
		.amdhsa_user_sgpr_dispatch_id 0
		.amdhsa_user_sgpr_kernarg_preload_length 0
		.amdhsa_user_sgpr_kernarg_preload_offset 0
		.amdhsa_user_sgpr_private_segment_size 0
		.amdhsa_wavefront_size32 1
		.amdhsa_uses_dynamic_stack 0
		.amdhsa_enable_private_segment 0
		.amdhsa_system_sgpr_workgroup_id_x 1
		.amdhsa_system_sgpr_workgroup_id_y 0
		.amdhsa_system_sgpr_workgroup_id_z 0
		.amdhsa_system_sgpr_workgroup_info 0
		.amdhsa_system_vgpr_workitem_id 0
		.amdhsa_next_free_vgpr 62
		.amdhsa_next_free_sgpr 8
		.amdhsa_named_barrier_count 0
		.amdhsa_reserve_vcc 1
		.amdhsa_float_round_mode_32 0
		.amdhsa_float_round_mode_16_64 0
		.amdhsa_float_denorm_mode_32 3
		.amdhsa_float_denorm_mode_16_64 3
		.amdhsa_fp16_overflow 0
		.amdhsa_memory_ordered 1
		.amdhsa_forward_progress 1
		.amdhsa_inst_pref_size 29
		.amdhsa_round_robin_scheduling 0
		.amdhsa_exception_fp_ieee_invalid_op 0
		.amdhsa_exception_fp_denorm_src 0
		.amdhsa_exception_fp_ieee_div_zero 0
		.amdhsa_exception_fp_ieee_overflow 0
		.amdhsa_exception_fp_ieee_underflow 0
		.amdhsa_exception_fp_ieee_inexact 0
		.amdhsa_exception_int_div_zero 0
	.end_amdhsa_kernel
	.section	.text._ZN9rocsparseL44gtsv_nopivot_strided_batch_pcr_shared_kernelILj32E21rocsparse_complex_numIdEEEviiiPKT0_S5_S5_PS3_,"axG",@progbits,_ZN9rocsparseL44gtsv_nopivot_strided_batch_pcr_shared_kernelILj32E21rocsparse_complex_numIdEEEviiiPKT0_S5_S5_PS3_,comdat
.Lfunc_end75:
	.size	_ZN9rocsparseL44gtsv_nopivot_strided_batch_pcr_shared_kernelILj32E21rocsparse_complex_numIdEEEviiiPKT0_S5_S5_PS3_, .Lfunc_end75-_ZN9rocsparseL44gtsv_nopivot_strided_batch_pcr_shared_kernelILj32E21rocsparse_complex_numIdEEEviiiPKT0_S5_S5_PS3_
                                        ; -- End function
	.set _ZN9rocsparseL44gtsv_nopivot_strided_batch_pcr_shared_kernelILj32E21rocsparse_complex_numIdEEEviiiPKT0_S5_S5_PS3_.num_vgpr, 62
	.set _ZN9rocsparseL44gtsv_nopivot_strided_batch_pcr_shared_kernelILj32E21rocsparse_complex_numIdEEEviiiPKT0_S5_S5_PS3_.num_agpr, 0
	.set _ZN9rocsparseL44gtsv_nopivot_strided_batch_pcr_shared_kernelILj32E21rocsparse_complex_numIdEEEviiiPKT0_S5_S5_PS3_.numbered_sgpr, 8
	.set _ZN9rocsparseL44gtsv_nopivot_strided_batch_pcr_shared_kernelILj32E21rocsparse_complex_numIdEEEviiiPKT0_S5_S5_PS3_.num_named_barrier, 0
	.set _ZN9rocsparseL44gtsv_nopivot_strided_batch_pcr_shared_kernelILj32E21rocsparse_complex_numIdEEEviiiPKT0_S5_S5_PS3_.private_seg_size, 0
	.set _ZN9rocsparseL44gtsv_nopivot_strided_batch_pcr_shared_kernelILj32E21rocsparse_complex_numIdEEEviiiPKT0_S5_S5_PS3_.uses_vcc, 1
	.set _ZN9rocsparseL44gtsv_nopivot_strided_batch_pcr_shared_kernelILj32E21rocsparse_complex_numIdEEEviiiPKT0_S5_S5_PS3_.uses_flat_scratch, 0
	.set _ZN9rocsparseL44gtsv_nopivot_strided_batch_pcr_shared_kernelILj32E21rocsparse_complex_numIdEEEviiiPKT0_S5_S5_PS3_.has_dyn_sized_stack, 0
	.set _ZN9rocsparseL44gtsv_nopivot_strided_batch_pcr_shared_kernelILj32E21rocsparse_complex_numIdEEEviiiPKT0_S5_S5_PS3_.has_recursion, 0
	.set _ZN9rocsparseL44gtsv_nopivot_strided_batch_pcr_shared_kernelILj32E21rocsparse_complex_numIdEEEviiiPKT0_S5_S5_PS3_.has_indirect_call, 0
	.section	.AMDGPU.csdata,"",@progbits
; Kernel info:
; codeLenInByte = 3628
; TotalNumSgprs: 10
; NumVgprs: 62
; ScratchSize: 0
; MemoryBound: 1
; FloatMode: 240
; IeeeMode: 1
; LDSByteSize: 2560 bytes/workgroup (compile time only)
; SGPRBlocks: 0
; VGPRBlocks: 3
; NumSGPRsForWavesPerEU: 10
; NumVGPRsForWavesPerEU: 62
; NamedBarCnt: 0
; Occupancy: 16
; WaveLimiterHint : 0
; COMPUTE_PGM_RSRC2:SCRATCH_EN: 0
; COMPUTE_PGM_RSRC2:USER_SGPR: 2
; COMPUTE_PGM_RSRC2:TRAP_HANDLER: 0
; COMPUTE_PGM_RSRC2:TGID_X_EN: 1
; COMPUTE_PGM_RSRC2:TGID_Y_EN: 0
; COMPUTE_PGM_RSRC2:TGID_Z_EN: 0
; COMPUTE_PGM_RSRC2:TIDIG_COMP_CNT: 0
	.section	.text._ZN9rocsparseL44gtsv_nopivot_strided_batch_pcr_shared_kernelILj64E21rocsparse_complex_numIdEEEviiiPKT0_S5_S5_PS3_,"axG",@progbits,_ZN9rocsparseL44gtsv_nopivot_strided_batch_pcr_shared_kernelILj64E21rocsparse_complex_numIdEEEviiiPKT0_S5_S5_PS3_,comdat
	.globl	_ZN9rocsparseL44gtsv_nopivot_strided_batch_pcr_shared_kernelILj64E21rocsparse_complex_numIdEEEviiiPKT0_S5_S5_PS3_ ; -- Begin function _ZN9rocsparseL44gtsv_nopivot_strided_batch_pcr_shared_kernelILj64E21rocsparse_complex_numIdEEEviiiPKT0_S5_S5_PS3_
	.p2align	8
	.type	_ZN9rocsparseL44gtsv_nopivot_strided_batch_pcr_shared_kernelILj64E21rocsparse_complex_numIdEEEviiiPKT0_S5_S5_PS3_,@function
_ZN9rocsparseL44gtsv_nopivot_strided_batch_pcr_shared_kernelILj64E21rocsparse_complex_numIdEEEviiiPKT0_S5_S5_PS3_: ; @_ZN9rocsparseL44gtsv_nopivot_strided_batch_pcr_shared_kernelILj64E21rocsparse_complex_numIdEEEviiiPKT0_S5_S5_PS3_
; %bb.0:
	s_clause 0x1
	s_load_b32 s2, s[0:1], 0x8
	s_load_b32 s3, s[0:1], 0x0
	s_bfe_u32 s4, ttmp6, 0x4000c
	s_and_b32 s5, ttmp6, 15
	s_add_co_i32 s4, s4, 1
	s_getreg_b32 s6, hwreg(HW_REG_IB_STS2, 6, 4)
	s_mul_i32 s4, ttmp9, s4
	v_mov_b64_e32 v[4:5], 0
	s_add_co_i32 s5, s5, s4
	s_cmp_eq_u32 s6, 0
	v_mov_b64_e32 v[8:9], 0
	s_cselect_b32 s4, ttmp9, s5
	v_mov_b64_e32 v[10:11], 0
	s_wait_kmcnt 0x0
	v_mad_u32 v1, s2, s4, v0
	v_cmp_gt_i32_e64 s2, s3, v0
	s_and_saveexec_b32 s4, s2
	s_cbranch_execz .LBB76_2
; %bb.1:
	s_load_b64 s[6:7], s[0:1], 0x10
	s_wait_kmcnt 0x0
	global_load_b128 v[8:11], v1, s[6:7] scale_offset
.LBB76_2:
	s_wait_xcnt 0x0
	s_or_b32 exec_lo, exec_lo, s4
	v_mov_b64_e32 v[6:7], 0
	v_lshlrev_b32_e32 v12, 4, v0
	s_wait_loadcnt 0x0
	ds_store_b128 v12, v[8:11]
	s_and_saveexec_b32 s4, s2
	s_cbranch_execz .LBB76_4
; %bb.3:
	s_load_b64 s[6:7], s[0:1], 0x18
	s_wait_kmcnt 0x0
	global_load_b128 v[4:7], v1, s[6:7] scale_offset
.LBB76_4:
	s_wait_xcnt 0x0
	s_or_b32 exec_lo, exec_lo, s4
	s_load_b64 s[4:5], s[0:1], 0x28
	v_mov_b64_e32 v[2:3], 0
	v_mov_b64_e32 v[8:9], 0
	v_mov_b64_e32 v[10:11], 0
	s_wait_loadcnt 0x0
	ds_store_b128 v12, v[4:7] offset:1024
	s_and_saveexec_b32 s6, s2
	s_cbranch_execz .LBB76_6
; %bb.5:
	s_wait_xcnt 0x0
	s_load_b64 s[0:1], s[0:1], 0x20
	s_wait_kmcnt 0x0
	global_load_b128 v[8:11], v1, s[0:1] scale_offset
.LBB76_6:
	s_wait_xcnt 0x0
	s_or_b32 exec_lo, exec_lo, s6
	v_mov_b64_e32 v[4:5], 0
	v_or_b32_e32 v7, 0x400, v12
	v_or_b32_e32 v6, 0x800, v12
	s_wait_loadcnt 0x0
	ds_store_b128 v12, v[8:11] offset:2048
	s_and_saveexec_b32 s0, s2
	s_cbranch_execz .LBB76_8
; %bb.7:
	s_wait_kmcnt 0x0
	global_load_b128 v[2:5], v1, s[4:5] scale_offset
.LBB76_8:
	s_wait_xcnt 0x0
	s_or_b32 exec_lo, exec_lo, s0
	v_sub_nc_u32_e64 v8, v0, 1 clamp
	s_add_co_i32 s1, s3, -1
	s_wait_loadcnt 0x0
	ds_store_b128 v12, v[2:5] offset:4096
	v_add_min_i32_e64 v14, v0, 1, s1
	s_wait_dscnt 0x0
	v_lshlrev_b32_e32 v13, 4, v8
	s_barrier_signal -1
	s_barrier_wait -1
	v_lshlrev_b32_e32 v56, 4, v14
	ds_load_b128 v[2:5], v13 offset:1024
	ds_load_b128 v[8:11], v13
	ds_load_b128 v[14:17], v56 offset:1024
	ds_load_b128 v[18:21], v56
	s_wait_dscnt 0x3
	v_mul_f64_e32 v[38:39], v[4:5], v[4:5]
	s_wait_dscnt 0x1
	v_mul_f64_e32 v[40:41], v[16:17], v[16:17]
	s_delay_alu instid0(VALU_DEP_2) | instskip(NEXT) | instid1(VALU_DEP_2)
	v_fmac_f64_e32 v[38:39], v[2:3], v[2:3]
	v_fmac_f64_e32 v[40:41], v[14:15], v[14:15]
	s_delay_alu instid0(VALU_DEP_2) | instskip(SKIP_1) | instid1(VALU_DEP_3)
	v_div_scale_f64 v[22:23], null, v[38:39], v[38:39], 1.0
	v_div_scale_f64 v[28:29], vcc_lo, 1.0, v[38:39], 1.0
	v_div_scale_f64 v[30:31], null, v[40:41], v[40:41], 1.0
	v_div_scale_f64 v[34:35], s0, 1.0, v[40:41], 1.0
	s_delay_alu instid0(VALU_DEP_4) | instskip(NEXT) | instid1(VALU_DEP_2)
	v_rcp_f64_e32 v[32:33], v[22:23]
	v_rcp_f64_e32 v[42:43], v[30:31]
	s_delay_alu instid0(TRANS32_DEP_2) | instskip(NEXT) | instid1(TRANS32_DEP_1)
	v_fma_f64 v[24:25], -v[22:23], v[32:33], 1.0
	v_fma_f64 v[26:27], -v[30:31], v[42:43], 1.0
	s_delay_alu instid0(VALU_DEP_2) | instskip(NEXT) | instid1(VALU_DEP_2)
	v_fmac_f64_e32 v[32:33], v[32:33], v[24:25]
	v_fmac_f64_e32 v[42:43], v[42:43], v[26:27]
	s_delay_alu instid0(VALU_DEP_2) | instskip(NEXT) | instid1(VALU_DEP_2)
	v_fma_f64 v[24:25], -v[22:23], v[32:33], 1.0
	v_fma_f64 v[26:27], -v[30:31], v[42:43], 1.0
	s_delay_alu instid0(VALU_DEP_2) | instskip(NEXT) | instid1(VALU_DEP_2)
	v_fmac_f64_e32 v[32:33], v[32:33], v[24:25]
	v_fmac_f64_e32 v[42:43], v[42:43], v[26:27]
	s_delay_alu instid0(VALU_DEP_2) | instskip(NEXT) | instid1(VALU_DEP_2)
	v_mul_f64_e32 v[36:37], v[28:29], v[32:33]
	v_mul_f64_e32 v[44:45], v[34:35], v[42:43]
	s_delay_alu instid0(VALU_DEP_2)
	v_fma_f64 v[46:47], -v[22:23], v[36:37], v[28:29]
	ds_load_b128 v[22:25], v12
	ds_load_b128 v[26:29], v7
	v_fma_f64 v[48:49], -v[30:31], v[44:45], v[34:35]
	s_wait_dscnt 0x1
	v_mul_f64_e64 v[50:51], v[4:5], -v[22:23]
	v_div_fmas_f64 v[46:47], v[46:47], v[32:33], v[36:37]
	ds_load_b128 v[30:33], v6
	ds_load_b128 v[34:37], v12 offset:4096
	s_mov_b32 vcc_lo, s0
	v_div_fmas_f64 v[42:43], v[48:49], v[42:43], v[44:45]
	v_mul_f64_e32 v[44:45], v[4:5], v[24:25]
	s_wait_dscnt 0x1
	v_mul_f64_e64 v[52:53], v[16:17], -v[30:31]
	v_fmac_f64_e32 v[50:51], v[24:25], v[2:3]
	v_div_fixup_f64 v[38:39], v[46:47], v[38:39], 1.0
	v_mul_f64_e32 v[46:47], v[16:17], v[32:33]
	v_div_fixup_f64 v[40:41], v[42:43], v[40:41], 1.0
	v_fmac_f64_e32 v[44:45], v[22:23], v[2:3]
	ds_load_b128 v[2:5], v13 offset:2048
	ds_load_b128 v[22:25], v13 offset:4096
	v_sub_nc_u32_e64 v13, v0, 2 clamp
	s_delay_alu instid0(VALU_DEP_1)
	v_lshlrev_b32_e32 v13, 4, v13
	v_fmac_f64_e32 v[52:53], v[32:33], v[14:15]
	v_mul_f64_e32 v[42:43], v[38:39], v[50:51]
	v_fmac_f64_e32 v[46:47], v[30:31], v[14:15]
	ds_load_b128 v[14:17], v56 offset:4096
	ds_load_b128 v[30:33], v56 offset:2048
	s_wait_dscnt 0x0
	s_barrier_signal -1
	v_mul_f64_e32 v[38:39], v[38:39], v[44:45]
	s_barrier_wait -1
	v_mul_f64_e32 v[48:49], v[40:41], v[52:53]
	v_mul_f64_e64 v[44:45], v[42:43], -v[4:5]
	v_mul_f64_e32 v[50:51], v[42:43], v[2:3]
	v_mul_f64_e64 v[52:53], v[42:43], -v[24:25]
	v_mul_f64_e32 v[54:55], v[42:43], v[22:23]
	v_mul_f64_e32 v[40:41], v[40:41], v[46:47]
	v_mul_f64_e64 v[46:47], v[48:49], -v[20:21]
	v_mul_f64_e32 v[56:57], v[48:49], v[18:19]
	v_mul_f64_e64 v[58:59], v[48:49], -v[16:17]
	v_mul_f64_e32 v[60:61], v[48:49], v[14:15]
	v_fmac_f64_e32 v[44:45], v[2:3], v[38:39]
	v_fmac_f64_e32 v[50:51], v[4:5], v[38:39]
	v_fmac_f64_e32 v[52:53], v[22:23], v[38:39]
	v_fmac_f64_e32 v[54:55], v[24:25], v[38:39]
	v_mul_f64_e32 v[2:3], v[42:43], v[10:11]
	v_mul_f64_e64 v[4:5], v[42:43], -v[8:9]
	v_mul_f64_e32 v[22:23], v[48:49], v[32:33]
	v_mul_f64_e64 v[24:25], v[48:49], -v[30:31]
	v_fmac_f64_e32 v[46:47], v[18:19], v[40:41]
	v_fmac_f64_e32 v[56:57], v[20:21], v[40:41]
	;; [unrolled: 1-line block ×4, first 2 shown]
	v_add_f64_e64 v[14:15], v[26:27], -v[44:45]
	v_add_f64_e64 v[16:17], v[28:29], -v[50:51]
	;; [unrolled: 1-line block ×4, first 2 shown]
	v_fma_f64 v[2:3], -v[8:9], v[38:39], v[2:3]
	v_fma_f64 v[4:5], -v[10:11], v[38:39], v[4:5]
	;; [unrolled: 1-line block ×4, first 2 shown]
	v_add_f64_e64 v[14:15], v[14:15], -v[46:47]
	v_add_f64_e64 v[16:17], v[16:17], -v[56:57]
	;; [unrolled: 1-line block ×4, first 2 shown]
	ds_store_b128 v7, v[14:17]
	ds_store_b128 v12, v[2:5]
	ds_store_b128 v12, v[18:21] offset:4096
	ds_store_b128 v6, v[8:11]
	s_wait_dscnt 0x0
	s_barrier_signal -1
	s_barrier_wait -1
	ds_load_b128 v[2:5], v13 offset:1024
	ds_load_b128 v[8:11], v13
	v_add_min_i32_e64 v14, v0, 2, s1
	s_delay_alu instid0(VALU_DEP_1)
	v_lshlrev_b32_e32 v56, 4, v14
	ds_load_b128 v[14:17], v56 offset:1024
	ds_load_b128 v[18:21], v56
	s_wait_dscnt 0x3
	v_mul_f64_e32 v[38:39], v[4:5], v[4:5]
	s_wait_dscnt 0x1
	v_mul_f64_e32 v[40:41], v[16:17], v[16:17]
	s_delay_alu instid0(VALU_DEP_2) | instskip(NEXT) | instid1(VALU_DEP_2)
	v_fmac_f64_e32 v[38:39], v[2:3], v[2:3]
	v_fmac_f64_e32 v[40:41], v[14:15], v[14:15]
	s_delay_alu instid0(VALU_DEP_2) | instskip(SKIP_1) | instid1(VALU_DEP_3)
	v_div_scale_f64 v[22:23], null, v[38:39], v[38:39], 1.0
	v_div_scale_f64 v[28:29], vcc_lo, 1.0, v[38:39], 1.0
	v_div_scale_f64 v[30:31], null, v[40:41], v[40:41], 1.0
	v_div_scale_f64 v[34:35], s0, 1.0, v[40:41], 1.0
	s_delay_alu instid0(VALU_DEP_4) | instskip(NEXT) | instid1(VALU_DEP_2)
	v_rcp_f64_e32 v[32:33], v[22:23]
	v_rcp_f64_e32 v[42:43], v[30:31]
	s_delay_alu instid0(TRANS32_DEP_2) | instskip(NEXT) | instid1(TRANS32_DEP_1)
	v_fma_f64 v[24:25], -v[22:23], v[32:33], 1.0
	v_fma_f64 v[26:27], -v[30:31], v[42:43], 1.0
	s_delay_alu instid0(VALU_DEP_2) | instskip(NEXT) | instid1(VALU_DEP_2)
	v_fmac_f64_e32 v[32:33], v[32:33], v[24:25]
	v_fmac_f64_e32 v[42:43], v[42:43], v[26:27]
	s_delay_alu instid0(VALU_DEP_2) | instskip(NEXT) | instid1(VALU_DEP_2)
	v_fma_f64 v[24:25], -v[22:23], v[32:33], 1.0
	v_fma_f64 v[26:27], -v[30:31], v[42:43], 1.0
	s_delay_alu instid0(VALU_DEP_2) | instskip(NEXT) | instid1(VALU_DEP_2)
	v_fmac_f64_e32 v[32:33], v[32:33], v[24:25]
	v_fmac_f64_e32 v[42:43], v[42:43], v[26:27]
	s_delay_alu instid0(VALU_DEP_2) | instskip(NEXT) | instid1(VALU_DEP_2)
	v_mul_f64_e32 v[36:37], v[28:29], v[32:33]
	v_mul_f64_e32 v[44:45], v[34:35], v[42:43]
	s_delay_alu instid0(VALU_DEP_2)
	v_fma_f64 v[46:47], -v[22:23], v[36:37], v[28:29]
	ds_load_b128 v[22:25], v12
	ds_load_b128 v[26:29], v7
	v_fma_f64 v[48:49], -v[30:31], v[44:45], v[34:35]
	s_wait_dscnt 0x1
	v_mul_f64_e64 v[50:51], v[4:5], -v[22:23]
	v_div_fmas_f64 v[46:47], v[46:47], v[32:33], v[36:37]
	ds_load_b128 v[30:33], v6
	ds_load_b128 v[34:37], v12 offset:4096
	s_mov_b32 vcc_lo, s0
	v_div_fmas_f64 v[42:43], v[48:49], v[42:43], v[44:45]
	v_mul_f64_e32 v[44:45], v[4:5], v[24:25]
	s_wait_dscnt 0x1
	v_mul_f64_e64 v[52:53], v[16:17], -v[30:31]
	v_fmac_f64_e32 v[50:51], v[24:25], v[2:3]
	v_div_fixup_f64 v[38:39], v[46:47], v[38:39], 1.0
	v_mul_f64_e32 v[46:47], v[16:17], v[32:33]
	v_div_fixup_f64 v[40:41], v[42:43], v[40:41], 1.0
	v_fmac_f64_e32 v[44:45], v[22:23], v[2:3]
	ds_load_b128 v[2:5], v13 offset:2048
	ds_load_b128 v[22:25], v13 offset:4096
	v_sub_nc_u32_e64 v13, v0, 4 clamp
	s_delay_alu instid0(VALU_DEP_1)
	v_lshlrev_b32_e32 v13, 4, v13
	v_fmac_f64_e32 v[52:53], v[32:33], v[14:15]
	v_mul_f64_e32 v[42:43], v[38:39], v[50:51]
	v_fmac_f64_e32 v[46:47], v[30:31], v[14:15]
	ds_load_b128 v[14:17], v56 offset:4096
	ds_load_b128 v[30:33], v56 offset:2048
	s_wait_dscnt 0x0
	s_barrier_signal -1
	s_barrier_wait -1
	v_mul_f64_e32 v[38:39], v[38:39], v[44:45]
	v_mul_f64_e32 v[48:49], v[40:41], v[52:53]
	v_mul_f64_e64 v[44:45], v[42:43], -v[4:5]
	v_mul_f64_e32 v[50:51], v[42:43], v[2:3]
	v_mul_f64_e64 v[52:53], v[42:43], -v[24:25]
	v_mul_f64_e32 v[54:55], v[42:43], v[22:23]
	v_mul_f64_e32 v[40:41], v[40:41], v[46:47]
	v_mul_f64_e64 v[46:47], v[48:49], -v[20:21]
	v_mul_f64_e32 v[56:57], v[48:49], v[18:19]
	v_mul_f64_e64 v[58:59], v[48:49], -v[16:17]
	v_mul_f64_e32 v[60:61], v[48:49], v[14:15]
	v_fmac_f64_e32 v[44:45], v[2:3], v[38:39]
	v_fmac_f64_e32 v[50:51], v[4:5], v[38:39]
	;; [unrolled: 1-line block ×4, first 2 shown]
	v_mul_f64_e32 v[2:3], v[42:43], v[10:11]
	v_mul_f64_e64 v[4:5], v[42:43], -v[8:9]
	v_mul_f64_e32 v[22:23], v[48:49], v[32:33]
	v_mul_f64_e64 v[24:25], v[48:49], -v[30:31]
	v_fmac_f64_e32 v[46:47], v[18:19], v[40:41]
	v_fmac_f64_e32 v[56:57], v[20:21], v[40:41]
	;; [unrolled: 1-line block ×4, first 2 shown]
	v_add_f64_e64 v[14:15], v[26:27], -v[44:45]
	v_add_f64_e64 v[16:17], v[28:29], -v[50:51]
	v_add_f64_e64 v[18:19], v[34:35], -v[52:53]
	v_add_f64_e64 v[20:21], v[36:37], -v[54:55]
	v_fma_f64 v[2:3], -v[8:9], v[38:39], v[2:3]
	v_fma_f64 v[4:5], -v[10:11], v[38:39], v[4:5]
	;; [unrolled: 1-line block ×4, first 2 shown]
	v_add_f64_e64 v[14:15], v[14:15], -v[46:47]
	v_add_f64_e64 v[16:17], v[16:17], -v[56:57]
	;; [unrolled: 1-line block ×4, first 2 shown]
	ds_store_b128 v7, v[14:17]
	ds_store_b128 v12, v[2:5]
	ds_store_b128 v12, v[18:21] offset:4096
	ds_store_b128 v6, v[8:11]
	s_wait_dscnt 0x0
	s_barrier_signal -1
	s_barrier_wait -1
	ds_load_b128 v[2:5], v13 offset:1024
	ds_load_b128 v[8:11], v13
	v_add_min_i32_e64 v14, v0, 4, s1
	s_delay_alu instid0(VALU_DEP_1)
	v_lshlrev_b32_e32 v56, 4, v14
	ds_load_b128 v[14:17], v56 offset:1024
	ds_load_b128 v[18:21], v56
	s_wait_dscnt 0x3
	v_mul_f64_e32 v[38:39], v[4:5], v[4:5]
	s_wait_dscnt 0x1
	v_mul_f64_e32 v[40:41], v[16:17], v[16:17]
	s_delay_alu instid0(VALU_DEP_2) | instskip(NEXT) | instid1(VALU_DEP_2)
	v_fmac_f64_e32 v[38:39], v[2:3], v[2:3]
	v_fmac_f64_e32 v[40:41], v[14:15], v[14:15]
	s_delay_alu instid0(VALU_DEP_2) | instskip(SKIP_1) | instid1(VALU_DEP_3)
	v_div_scale_f64 v[22:23], null, v[38:39], v[38:39], 1.0
	v_div_scale_f64 v[28:29], vcc_lo, 1.0, v[38:39], 1.0
	v_div_scale_f64 v[30:31], null, v[40:41], v[40:41], 1.0
	v_div_scale_f64 v[34:35], s0, 1.0, v[40:41], 1.0
	s_delay_alu instid0(VALU_DEP_4) | instskip(NEXT) | instid1(VALU_DEP_2)
	v_rcp_f64_e32 v[32:33], v[22:23]
	v_rcp_f64_e32 v[42:43], v[30:31]
	s_delay_alu instid0(TRANS32_DEP_2) | instskip(NEXT) | instid1(TRANS32_DEP_1)
	v_fma_f64 v[24:25], -v[22:23], v[32:33], 1.0
	v_fma_f64 v[26:27], -v[30:31], v[42:43], 1.0
	s_delay_alu instid0(VALU_DEP_2) | instskip(NEXT) | instid1(VALU_DEP_2)
	v_fmac_f64_e32 v[32:33], v[32:33], v[24:25]
	v_fmac_f64_e32 v[42:43], v[42:43], v[26:27]
	s_delay_alu instid0(VALU_DEP_2) | instskip(NEXT) | instid1(VALU_DEP_2)
	v_fma_f64 v[24:25], -v[22:23], v[32:33], 1.0
	v_fma_f64 v[26:27], -v[30:31], v[42:43], 1.0
	s_delay_alu instid0(VALU_DEP_2) | instskip(NEXT) | instid1(VALU_DEP_2)
	v_fmac_f64_e32 v[32:33], v[32:33], v[24:25]
	v_fmac_f64_e32 v[42:43], v[42:43], v[26:27]
	s_delay_alu instid0(VALU_DEP_2) | instskip(NEXT) | instid1(VALU_DEP_2)
	v_mul_f64_e32 v[36:37], v[28:29], v[32:33]
	v_mul_f64_e32 v[44:45], v[34:35], v[42:43]
	s_delay_alu instid0(VALU_DEP_2)
	v_fma_f64 v[46:47], -v[22:23], v[36:37], v[28:29]
	ds_load_b128 v[22:25], v12
	ds_load_b128 v[26:29], v7
	v_fma_f64 v[48:49], -v[30:31], v[44:45], v[34:35]
	s_wait_dscnt 0x1
	v_mul_f64_e64 v[50:51], v[4:5], -v[22:23]
	v_div_fmas_f64 v[46:47], v[46:47], v[32:33], v[36:37]
	ds_load_b128 v[30:33], v6
	ds_load_b128 v[34:37], v12 offset:4096
	s_mov_b32 vcc_lo, s0
	v_div_fmas_f64 v[42:43], v[48:49], v[42:43], v[44:45]
	v_mul_f64_e32 v[44:45], v[4:5], v[24:25]
	s_wait_dscnt 0x1
	v_mul_f64_e64 v[52:53], v[16:17], -v[30:31]
	v_fmac_f64_e32 v[50:51], v[24:25], v[2:3]
	v_div_fixup_f64 v[38:39], v[46:47], v[38:39], 1.0
	v_mul_f64_e32 v[46:47], v[16:17], v[32:33]
	v_div_fixup_f64 v[40:41], v[42:43], v[40:41], 1.0
	v_fmac_f64_e32 v[44:45], v[22:23], v[2:3]
	ds_load_b128 v[2:5], v13 offset:2048
	ds_load_b128 v[22:25], v13 offset:4096
	v_sub_nc_u32_e64 v13, v0, 8 clamp
	s_delay_alu instid0(VALU_DEP_1)
	v_lshlrev_b32_e32 v13, 4, v13
	v_fmac_f64_e32 v[52:53], v[32:33], v[14:15]
	v_mul_f64_e32 v[42:43], v[38:39], v[50:51]
	v_fmac_f64_e32 v[46:47], v[30:31], v[14:15]
	ds_load_b128 v[14:17], v56 offset:4096
	ds_load_b128 v[30:33], v56 offset:2048
	s_wait_dscnt 0x0
	s_barrier_signal -1
	s_barrier_wait -1
	v_mul_f64_e32 v[38:39], v[38:39], v[44:45]
	v_mul_f64_e32 v[48:49], v[40:41], v[52:53]
	v_mul_f64_e64 v[44:45], v[42:43], -v[4:5]
	v_mul_f64_e32 v[50:51], v[42:43], v[2:3]
	v_mul_f64_e64 v[52:53], v[42:43], -v[24:25]
	v_mul_f64_e32 v[54:55], v[42:43], v[22:23]
	v_mul_f64_e32 v[40:41], v[40:41], v[46:47]
	v_mul_f64_e64 v[46:47], v[48:49], -v[20:21]
	v_mul_f64_e32 v[56:57], v[48:49], v[18:19]
	v_mul_f64_e64 v[58:59], v[48:49], -v[16:17]
	v_mul_f64_e32 v[60:61], v[48:49], v[14:15]
	v_fmac_f64_e32 v[44:45], v[2:3], v[38:39]
	v_fmac_f64_e32 v[50:51], v[4:5], v[38:39]
	;; [unrolled: 1-line block ×4, first 2 shown]
	v_mul_f64_e32 v[2:3], v[42:43], v[10:11]
	v_mul_f64_e64 v[4:5], v[42:43], -v[8:9]
	v_mul_f64_e32 v[22:23], v[48:49], v[32:33]
	v_mul_f64_e64 v[24:25], v[48:49], -v[30:31]
	v_fmac_f64_e32 v[46:47], v[18:19], v[40:41]
	v_fmac_f64_e32 v[56:57], v[20:21], v[40:41]
	;; [unrolled: 1-line block ×4, first 2 shown]
	v_add_f64_e64 v[14:15], v[26:27], -v[44:45]
	v_add_f64_e64 v[16:17], v[28:29], -v[50:51]
	;; [unrolled: 1-line block ×4, first 2 shown]
	v_fma_f64 v[2:3], -v[8:9], v[38:39], v[2:3]
	v_fma_f64 v[4:5], -v[10:11], v[38:39], v[4:5]
	;; [unrolled: 1-line block ×4, first 2 shown]
	v_add_f64_e64 v[14:15], v[14:15], -v[46:47]
	v_add_f64_e64 v[16:17], v[16:17], -v[56:57]
	;; [unrolled: 1-line block ×4, first 2 shown]
	ds_store_b128 v7, v[14:17]
	ds_store_b128 v12, v[2:5]
	ds_store_b128 v12, v[18:21] offset:4096
	ds_store_b128 v6, v[8:11]
	s_wait_dscnt 0x0
	s_barrier_signal -1
	s_barrier_wait -1
	ds_load_b128 v[2:5], v13 offset:1024
	ds_load_b128 v[8:11], v13
	v_add_min_i32_e64 v14, v0, 8, s1
	s_delay_alu instid0(VALU_DEP_1)
	v_lshlrev_b32_e32 v56, 4, v14
	ds_load_b128 v[14:17], v56 offset:1024
	ds_load_b128 v[18:21], v56
	s_wait_dscnt 0x3
	v_mul_f64_e32 v[38:39], v[4:5], v[4:5]
	s_wait_dscnt 0x1
	v_mul_f64_e32 v[40:41], v[16:17], v[16:17]
	s_delay_alu instid0(VALU_DEP_2) | instskip(NEXT) | instid1(VALU_DEP_2)
	v_fmac_f64_e32 v[38:39], v[2:3], v[2:3]
	v_fmac_f64_e32 v[40:41], v[14:15], v[14:15]
	s_delay_alu instid0(VALU_DEP_2) | instskip(SKIP_1) | instid1(VALU_DEP_3)
	v_div_scale_f64 v[22:23], null, v[38:39], v[38:39], 1.0
	v_div_scale_f64 v[28:29], vcc_lo, 1.0, v[38:39], 1.0
	v_div_scale_f64 v[30:31], null, v[40:41], v[40:41], 1.0
	v_div_scale_f64 v[34:35], s0, 1.0, v[40:41], 1.0
	s_delay_alu instid0(VALU_DEP_4) | instskip(NEXT) | instid1(VALU_DEP_2)
	v_rcp_f64_e32 v[32:33], v[22:23]
	v_rcp_f64_e32 v[42:43], v[30:31]
	s_delay_alu instid0(TRANS32_DEP_2) | instskip(NEXT) | instid1(TRANS32_DEP_1)
	v_fma_f64 v[24:25], -v[22:23], v[32:33], 1.0
	v_fma_f64 v[26:27], -v[30:31], v[42:43], 1.0
	s_delay_alu instid0(VALU_DEP_2) | instskip(NEXT) | instid1(VALU_DEP_2)
	v_fmac_f64_e32 v[32:33], v[32:33], v[24:25]
	v_fmac_f64_e32 v[42:43], v[42:43], v[26:27]
	s_delay_alu instid0(VALU_DEP_2) | instskip(NEXT) | instid1(VALU_DEP_2)
	v_fma_f64 v[24:25], -v[22:23], v[32:33], 1.0
	v_fma_f64 v[26:27], -v[30:31], v[42:43], 1.0
	s_delay_alu instid0(VALU_DEP_2) | instskip(NEXT) | instid1(VALU_DEP_2)
	v_fmac_f64_e32 v[32:33], v[32:33], v[24:25]
	v_fmac_f64_e32 v[42:43], v[42:43], v[26:27]
	s_delay_alu instid0(VALU_DEP_2) | instskip(NEXT) | instid1(VALU_DEP_2)
	v_mul_f64_e32 v[36:37], v[28:29], v[32:33]
	v_mul_f64_e32 v[44:45], v[34:35], v[42:43]
	s_delay_alu instid0(VALU_DEP_2)
	v_fma_f64 v[46:47], -v[22:23], v[36:37], v[28:29]
	ds_load_b128 v[22:25], v12
	ds_load_b128 v[26:29], v7
	v_fma_f64 v[48:49], -v[30:31], v[44:45], v[34:35]
	s_wait_dscnt 0x1
	v_mul_f64_e64 v[50:51], v[4:5], -v[22:23]
	v_div_fmas_f64 v[46:47], v[46:47], v[32:33], v[36:37]
	ds_load_b128 v[30:33], v6
	ds_load_b128 v[34:37], v12 offset:4096
	s_mov_b32 vcc_lo, s0
	v_div_fmas_f64 v[42:43], v[48:49], v[42:43], v[44:45]
	v_mul_f64_e32 v[44:45], v[4:5], v[24:25]
	s_wait_dscnt 0x1
	v_mul_f64_e64 v[52:53], v[16:17], -v[30:31]
	v_fmac_f64_e32 v[50:51], v[24:25], v[2:3]
	v_div_fixup_f64 v[38:39], v[46:47], v[38:39], 1.0
	v_mul_f64_e32 v[46:47], v[16:17], v[32:33]
	v_div_fixup_f64 v[40:41], v[42:43], v[40:41], 1.0
	v_fmac_f64_e32 v[44:45], v[22:23], v[2:3]
	ds_load_b128 v[2:5], v13 offset:2048
	ds_load_b128 v[22:25], v13 offset:4096
	v_sub_nc_u32_e64 v13, v0, 16 clamp
	s_delay_alu instid0(VALU_DEP_1)
	v_lshlrev_b32_e32 v13, 4, v13
	v_fmac_f64_e32 v[52:53], v[32:33], v[14:15]
	v_mul_f64_e32 v[42:43], v[38:39], v[50:51]
	v_fmac_f64_e32 v[46:47], v[30:31], v[14:15]
	ds_load_b128 v[14:17], v56 offset:4096
	ds_load_b128 v[30:33], v56 offset:2048
	s_wait_dscnt 0x0
	s_barrier_signal -1
	s_barrier_wait -1
	v_mul_f64_e32 v[38:39], v[38:39], v[44:45]
	v_mul_f64_e32 v[48:49], v[40:41], v[52:53]
	v_mul_f64_e64 v[44:45], v[42:43], -v[4:5]
	v_mul_f64_e32 v[50:51], v[42:43], v[2:3]
	v_mul_f64_e64 v[52:53], v[42:43], -v[24:25]
	v_mul_f64_e32 v[54:55], v[42:43], v[22:23]
	v_mul_f64_e32 v[40:41], v[40:41], v[46:47]
	v_mul_f64_e64 v[46:47], v[48:49], -v[20:21]
	v_mul_f64_e32 v[56:57], v[48:49], v[18:19]
	v_mul_f64_e64 v[58:59], v[48:49], -v[16:17]
	v_mul_f64_e32 v[60:61], v[48:49], v[14:15]
	v_fmac_f64_e32 v[44:45], v[2:3], v[38:39]
	v_fmac_f64_e32 v[50:51], v[4:5], v[38:39]
	;; [unrolled: 1-line block ×4, first 2 shown]
	v_mul_f64_e32 v[2:3], v[42:43], v[10:11]
	v_mul_f64_e64 v[4:5], v[42:43], -v[8:9]
	v_mul_f64_e32 v[22:23], v[48:49], v[32:33]
	v_mul_f64_e64 v[24:25], v[48:49], -v[30:31]
	v_fmac_f64_e32 v[46:47], v[18:19], v[40:41]
	v_fmac_f64_e32 v[56:57], v[20:21], v[40:41]
	;; [unrolled: 1-line block ×4, first 2 shown]
	v_add_f64_e64 v[14:15], v[26:27], -v[44:45]
	v_add_f64_e64 v[16:17], v[28:29], -v[50:51]
	v_add_f64_e64 v[18:19], v[34:35], -v[52:53]
	v_add_f64_e64 v[20:21], v[36:37], -v[54:55]
	v_fma_f64 v[2:3], -v[8:9], v[38:39], v[2:3]
	v_fma_f64 v[4:5], -v[10:11], v[38:39], v[4:5]
	;; [unrolled: 1-line block ×4, first 2 shown]
	v_add_f64_e64 v[14:15], v[14:15], -v[46:47]
	v_add_f64_e64 v[16:17], v[16:17], -v[56:57]
	;; [unrolled: 1-line block ×4, first 2 shown]
	ds_store_b128 v7, v[14:17]
	ds_store_b128 v12, v[2:5]
	ds_store_b128 v12, v[18:21] offset:4096
	ds_store_b128 v6, v[8:11]
	s_wait_dscnt 0x0
	s_barrier_signal -1
	s_barrier_wait -1
	ds_load_b128 v[2:5], v13 offset:1024
	ds_load_b128 v[8:11], v13
	v_add_min_i32_e64 v14, v0, 16, s1
	s_delay_alu instid0(VALU_DEP_1)
	v_lshlrev_b32_e32 v56, 4, v14
	ds_load_b128 v[14:17], v56 offset:1024
	ds_load_b128 v[18:21], v56
	s_wait_dscnt 0x3
	v_mul_f64_e32 v[38:39], v[4:5], v[4:5]
	s_wait_dscnt 0x1
	v_mul_f64_e32 v[40:41], v[16:17], v[16:17]
	s_delay_alu instid0(VALU_DEP_2) | instskip(NEXT) | instid1(VALU_DEP_2)
	v_fmac_f64_e32 v[38:39], v[2:3], v[2:3]
	v_fmac_f64_e32 v[40:41], v[14:15], v[14:15]
	s_delay_alu instid0(VALU_DEP_2) | instskip(SKIP_1) | instid1(VALU_DEP_3)
	v_div_scale_f64 v[22:23], null, v[38:39], v[38:39], 1.0
	v_div_scale_f64 v[28:29], vcc_lo, 1.0, v[38:39], 1.0
	v_div_scale_f64 v[30:31], null, v[40:41], v[40:41], 1.0
	v_div_scale_f64 v[34:35], s0, 1.0, v[40:41], 1.0
	s_delay_alu instid0(VALU_DEP_4) | instskip(NEXT) | instid1(VALU_DEP_2)
	v_rcp_f64_e32 v[32:33], v[22:23]
	v_rcp_f64_e32 v[42:43], v[30:31]
	s_delay_alu instid0(TRANS32_DEP_2) | instskip(NEXT) | instid1(TRANS32_DEP_1)
	v_fma_f64 v[24:25], -v[22:23], v[32:33], 1.0
	v_fma_f64 v[26:27], -v[30:31], v[42:43], 1.0
	s_delay_alu instid0(VALU_DEP_2) | instskip(NEXT) | instid1(VALU_DEP_2)
	v_fmac_f64_e32 v[32:33], v[32:33], v[24:25]
	v_fmac_f64_e32 v[42:43], v[42:43], v[26:27]
	s_delay_alu instid0(VALU_DEP_2) | instskip(NEXT) | instid1(VALU_DEP_2)
	v_fma_f64 v[24:25], -v[22:23], v[32:33], 1.0
	v_fma_f64 v[26:27], -v[30:31], v[42:43], 1.0
	s_delay_alu instid0(VALU_DEP_2) | instskip(NEXT) | instid1(VALU_DEP_2)
	v_fmac_f64_e32 v[32:33], v[32:33], v[24:25]
	v_fmac_f64_e32 v[42:43], v[42:43], v[26:27]
	s_delay_alu instid0(VALU_DEP_2) | instskip(NEXT) | instid1(VALU_DEP_2)
	v_mul_f64_e32 v[36:37], v[28:29], v[32:33]
	v_mul_f64_e32 v[44:45], v[34:35], v[42:43]
	s_delay_alu instid0(VALU_DEP_2)
	v_fma_f64 v[46:47], -v[22:23], v[36:37], v[28:29]
	ds_load_b128 v[22:25], v12
	ds_load_b128 v[26:29], v7
	v_fma_f64 v[48:49], -v[30:31], v[44:45], v[34:35]
	s_wait_dscnt 0x1
	v_mul_f64_e64 v[50:51], v[4:5], -v[22:23]
	v_div_fmas_f64 v[46:47], v[46:47], v[32:33], v[36:37]
	ds_load_b128 v[30:33], v6
	ds_load_b128 v[34:37], v12 offset:4096
	s_mov_b32 vcc_lo, s0
	s_mov_b32 s0, exec_lo
	v_div_fmas_f64 v[42:43], v[48:49], v[42:43], v[44:45]
	v_mul_f64_e32 v[44:45], v[4:5], v[24:25]
	s_wait_dscnt 0x1
	v_mul_f64_e64 v[52:53], v[16:17], -v[30:31]
	v_fmac_f64_e32 v[50:51], v[24:25], v[2:3]
	v_div_fixup_f64 v[38:39], v[46:47], v[38:39], 1.0
	v_mul_f64_e32 v[46:47], v[16:17], v[32:33]
	v_div_fixup_f64 v[40:41], v[42:43], v[40:41], 1.0
	v_fmac_f64_e32 v[44:45], v[22:23], v[2:3]
	ds_load_b128 v[2:5], v13 offset:2048
	ds_load_b128 v[22:25], v13 offset:4096
	v_fmac_f64_e32 v[52:53], v[32:33], v[14:15]
	v_mul_f64_e32 v[42:43], v[38:39], v[50:51]
	v_fmac_f64_e32 v[46:47], v[30:31], v[14:15]
	ds_load_b128 v[14:17], v56 offset:4096
	ds_load_b128 v[30:33], v56 offset:2048
	s_wait_dscnt 0x0
	s_barrier_signal -1
	s_barrier_wait -1
	v_mul_f64_e32 v[38:39], v[38:39], v[44:45]
	v_mul_f64_e32 v[48:49], v[40:41], v[52:53]
	v_mul_f64_e64 v[44:45], v[42:43], -v[4:5]
	v_mul_f64_e32 v[50:51], v[42:43], v[2:3]
	v_mul_f64_e64 v[52:53], v[42:43], -v[24:25]
	v_mul_f64_e32 v[54:55], v[42:43], v[22:23]
	v_mul_f64_e32 v[40:41], v[40:41], v[46:47]
	v_mul_f64_e64 v[46:47], v[48:49], -v[20:21]
	v_mul_f64_e32 v[56:57], v[48:49], v[18:19]
	v_mul_f64_e64 v[58:59], v[48:49], -v[16:17]
	v_mul_f64_e32 v[60:61], v[48:49], v[14:15]
	v_fmac_f64_e32 v[44:45], v[2:3], v[38:39]
	v_fmac_f64_e32 v[50:51], v[4:5], v[38:39]
	v_fmac_f64_e32 v[52:53], v[22:23], v[38:39]
	v_fmac_f64_e32 v[54:55], v[24:25], v[38:39]
	v_mul_f64_e32 v[2:3], v[42:43], v[10:11]
	v_mul_f64_e64 v[4:5], v[42:43], -v[8:9]
	v_mul_f64_e32 v[22:23], v[48:49], v[32:33]
	v_mul_f64_e64 v[24:25], v[48:49], -v[30:31]
	v_fmac_f64_e32 v[46:47], v[18:19], v[40:41]
	v_fmac_f64_e32 v[56:57], v[20:21], v[40:41]
	;; [unrolled: 1-line block ×4, first 2 shown]
	v_add_f64_e64 v[14:15], v[26:27], -v[44:45]
	v_add_f64_e64 v[16:17], v[28:29], -v[50:51]
	;; [unrolled: 1-line block ×4, first 2 shown]
	v_fma_f64 v[2:3], -v[8:9], v[38:39], v[2:3]
	v_fma_f64 v[4:5], -v[10:11], v[38:39], v[4:5]
	;; [unrolled: 1-line block ×4, first 2 shown]
	v_add_f64_e64 v[14:15], v[14:15], -v[46:47]
	v_add_f64_e64 v[16:17], v[16:17], -v[56:57]
	;; [unrolled: 1-line block ×4, first 2 shown]
	ds_store_b128 v7, v[14:17]
	ds_store_b128 v12, v[2:5]
	ds_store_b128 v12, v[18:21] offset:4096
	ds_store_b128 v6, v[8:11]
	s_wait_dscnt 0x0
	s_barrier_signal -1
	s_barrier_wait -1
	v_cmpx_gt_u32_e32 32, v0
	s_cbranch_execz .LBB76_14
; %bb.9:
	v_or_b32_e32 v8, 32, v0
	v_or_b32_e32 v9, 0x1000, v12
	s_mov_b32 s1, exec_lo
                                        ; implicit-def: $vgpr4_vgpr5
	s_delay_alu instid0(VALU_DEP_2)
	v_cmpx_le_i32_e64 s3, v8
	s_xor_b32 s1, exec_lo, s1
	s_cbranch_execz .LBB76_11
; %bb.10:
	ds_load_b128 v[2:5], v7
	ds_load_b128 v[6:9], v9
	s_wait_dscnt 0x1
	v_mul_f64_e32 v[10:11], v[4:5], v[4:5]
	s_delay_alu instid0(VALU_DEP_1) | instskip(NEXT) | instid1(VALU_DEP_1)
	v_fmac_f64_e32 v[10:11], v[2:3], v[2:3]
	v_div_scale_f64 v[12:13], null, v[10:11], v[10:11], 1.0
	v_div_scale_f64 v[18:19], vcc_lo, 1.0, v[10:11], 1.0
	s_delay_alu instid0(VALU_DEP_2) | instskip(SKIP_1) | instid1(TRANS32_DEP_1)
	v_rcp_f64_e32 v[14:15], v[12:13]
	v_nop
	v_fma_f64 v[16:17], -v[12:13], v[14:15], 1.0
	s_delay_alu instid0(VALU_DEP_1) | instskip(NEXT) | instid1(VALU_DEP_1)
	v_fmac_f64_e32 v[14:15], v[14:15], v[16:17]
	v_fma_f64 v[16:17], -v[12:13], v[14:15], 1.0
	s_delay_alu instid0(VALU_DEP_1) | instskip(NEXT) | instid1(VALU_DEP_1)
	v_fmac_f64_e32 v[14:15], v[14:15], v[16:17]
	v_mul_f64_e32 v[16:17], v[18:19], v[14:15]
	s_delay_alu instid0(VALU_DEP_1) | instskip(SKIP_3) | instid1(VALU_DEP_3)
	v_fma_f64 v[12:13], -v[12:13], v[16:17], v[18:19]
	s_wait_dscnt 0x0
	v_mul_f64_e32 v[18:19], v[4:5], v[8:9]
	v_mul_f64_e64 v[4:5], v[4:5], -v[6:7]
	v_div_fmas_f64 v[12:13], v[12:13], v[14:15], v[16:17]
	s_delay_alu instid0(VALU_DEP_3) | instskip(NEXT) | instid1(VALU_DEP_3)
	v_fmac_f64_e32 v[18:19], v[6:7], v[2:3]
	v_fmac_f64_e32 v[4:5], v[8:9], v[2:3]
                                        ; implicit-def: $vgpr9
                                        ; implicit-def: $vgpr8
	s_delay_alu instid0(VALU_DEP_3) | instskip(NEXT) | instid1(VALU_DEP_1)
	v_div_fixup_f64 v[6:7], v[12:13], v[10:11], 1.0
                                        ; implicit-def: $vgpr12
	v_mul_f64_e32 v[2:3], v[6:7], v[18:19]
	s_delay_alu instid0(VALU_DEP_3)
	v_mul_f64_e32 v[4:5], v[6:7], v[4:5]
                                        ; implicit-def: $vgpr7
                                        ; implicit-def: $vgpr6
.LBB76_11:
	s_or_saveexec_b32 s1, s1
	v_mov_b32_e32 v10, v0
	s_xor_b32 exec_lo, exec_lo, s1
	s_cbranch_execz .LBB76_13
; %bb.12:
	ds_load_b128 v[2:5], v7
	ds_load_b128 v[14:17], v7 offset:512
	ds_load_b128 v[18:21], v12 offset:512
	ds_load_b128 v[22:25], v6
	s_wait_dscnt 0x2
	v_mul_f64_e32 v[6:7], v[4:5], v[14:15]
	v_mul_f64_e64 v[26:27], v[4:5], -v[16:17]
	s_wait_dscnt 0x0
	v_mul_f64_e32 v[10:11], v[20:21], v[22:23]
	v_mul_f64_e64 v[28:29], v[20:21], -v[24:25]
	s_delay_alu instid0(VALU_DEP_4) | instskip(NEXT) | instid1(VALU_DEP_4)
	v_fmac_f64_e32 v[6:7], v[16:17], v[2:3]
	v_fmac_f64_e32 v[26:27], v[14:15], v[2:3]
	s_delay_alu instid0(VALU_DEP_4) | instskip(NEXT) | instid1(VALU_DEP_4)
	v_fmac_f64_e32 v[10:11], v[24:25], v[18:19]
	v_fmac_f64_e32 v[28:29], v[22:23], v[18:19]
	s_delay_alu instid0(VALU_DEP_2) | instskip(NEXT) | instid1(VALU_DEP_2)
	v_add_f64_e64 v[6:7], v[6:7], -v[10:11]
	v_add_f64_e64 v[10:11], v[26:27], -v[28:29]
	s_delay_alu instid0(VALU_DEP_2) | instskip(NEXT) | instid1(VALU_DEP_1)
	v_mul_f64_e32 v[34:35], v[6:7], v[6:7]
	v_fmac_f64_e32 v[34:35], v[10:11], v[10:11]
	s_delay_alu instid0(VALU_DEP_1) | instskip(SKIP_1) | instid1(VALU_DEP_2)
	v_div_scale_f64 v[26:27], null, v[34:35], v[34:35], 1.0
	v_div_scale_f64 v[30:31], vcc_lo, 1.0, v[34:35], 1.0
	v_rcp_f64_e32 v[36:37], v[26:27]
	v_nop
	s_delay_alu instid0(TRANS32_DEP_1) | instskip(NEXT) | instid1(VALU_DEP_1)
	v_fma_f64 v[28:29], -v[26:27], v[36:37], 1.0
	v_fmac_f64_e32 v[36:37], v[36:37], v[28:29]
	s_delay_alu instid0(VALU_DEP_1) | instskip(NEXT) | instid1(VALU_DEP_1)
	v_fma_f64 v[28:29], -v[26:27], v[36:37], 1.0
	v_fmac_f64_e32 v[36:37], v[36:37], v[28:29]
	s_delay_alu instid0(VALU_DEP_1) | instskip(NEXT) | instid1(VALU_DEP_1)
	v_mul_f64_e32 v[38:39], v[30:31], v[36:37]
	v_fma_f64 v[40:41], -v[26:27], v[38:39], v[30:31]
	ds_load_b128 v[26:29], v9
	ds_load_b128 v[30:33], v9 offset:512
	s_wait_dscnt 0x1
	v_mul_f64_e64 v[42:43], v[28:29], -v[16:17]
	v_mul_f64_e32 v[44:45], v[14:15], v[28:29]
	s_wait_dscnt 0x0
	v_mul_f64_e64 v[46:47], v[32:33], -v[24:25]
	v_mul_f64_e32 v[48:49], v[22:23], v[32:33]
	v_mul_f64_e64 v[50:51], v[4:5], -v[32:33]
	v_mul_f64_e32 v[4:5], v[4:5], v[30:31]
	v_div_fmas_f64 v[36:37], v[40:41], v[36:37], v[38:39]
	v_mul_f64_e32 v[38:39], v[20:21], v[26:27]
	v_mul_f64_e64 v[20:21], v[20:21], -v[28:29]
	v_fmac_f64_e32 v[42:43], v[14:15], v[26:27]
	v_fmac_f64_e32 v[44:45], v[16:17], v[26:27]
	;; [unrolled: 1-line block ×5, first 2 shown]
	v_fma_f64 v[14:15], v[10:11], 0, -v[6:7]
	v_fmac_f64_e32 v[4:5], v[32:33], v[2:3]
	v_fma_f64 v[2:3], 0, v[6:7], v[10:11]
	v_div_fixup_f64 v[16:17], v[36:37], v[34:35], 1.0
	v_fmac_f64_e32 v[38:39], v[28:29], v[18:19]
	v_fmac_f64_e32 v[20:21], v[26:27], v[18:19]
	v_add_f64_e64 v[10:11], v[42:43], -v[46:47]
	v_add_f64_e64 v[18:19], v[44:45], -v[48:49]
	v_mul_f64_e32 v[6:7], v[14:15], v[16:17]
	v_add_f64_e64 v[22:23], v[4:5], -v[38:39]
	v_add_f64_e64 v[20:21], v[50:51], -v[20:21]
	v_mul_f64_e32 v[24:25], v[2:3], v[16:17]
	s_delay_alu instid0(VALU_DEP_4) | instskip(SKIP_3) | instid1(VALU_DEP_4)
	v_mul_f64_e64 v[14:15], v[6:7], -v[18:19]
	v_mul_f64_e32 v[16:17], v[6:7], v[10:11]
	v_mul_f64_e64 v[2:3], v[6:7], -v[22:23]
	v_mul_f64_e32 v[4:5], v[6:7], v[20:21]
	v_fmac_f64_e32 v[14:15], v[10:11], v[24:25]
	s_delay_alu instid0(VALU_DEP_4) | instskip(NEXT) | instid1(VALU_DEP_4)
	v_fmac_f64_e32 v[16:17], v[18:19], v[24:25]
	v_fmac_f64_e32 v[2:3], v[20:21], v[24:25]
	s_delay_alu instid0(VALU_DEP_4)
	v_fmac_f64_e32 v[4:5], v[22:23], v[24:25]
	v_mov_b32_e32 v10, v8
	ds_store_b128 v12, v[14:17] offset:3072
.LBB76_13:
	s_or_b32 exec_lo, exec_lo, s1
	s_delay_alu instid0(VALU_DEP_1)
	v_lshlrev_b32_e32 v6, 4, v10
	ds_store_b128 v6, v[2:5] offset:3072
.LBB76_14:
	s_or_b32 exec_lo, exec_lo, s0
	s_wait_dscnt 0x0
	s_barrier_signal -1
	s_barrier_wait -1
	s_and_saveexec_b32 s0, s2
	s_cbranch_execz .LBB76_16
; %bb.15:
	v_lshl_or_b32 v0, v0, 4, 0xc00
	ds_load_2addr_b64 v[2:5], v0 offset1:1
	s_wait_dscnt 0x0
	s_wait_kmcnt 0x0
	global_store_b128 v1, v[2:5], s[4:5] scale_offset
.LBB76_16:
	s_endpgm
	.section	.rodata,"a",@progbits
	.p2align	6, 0x0
	.amdhsa_kernel _ZN9rocsparseL44gtsv_nopivot_strided_batch_pcr_shared_kernelILj64E21rocsparse_complex_numIdEEEviiiPKT0_S5_S5_PS3_
		.amdhsa_group_segment_fixed_size 5120
		.amdhsa_private_segment_fixed_size 0
		.amdhsa_kernarg_size 48
		.amdhsa_user_sgpr_count 2
		.amdhsa_user_sgpr_dispatch_ptr 0
		.amdhsa_user_sgpr_queue_ptr 0
		.amdhsa_user_sgpr_kernarg_segment_ptr 1
		.amdhsa_user_sgpr_dispatch_id 0
		.amdhsa_user_sgpr_kernarg_preload_length 0
		.amdhsa_user_sgpr_kernarg_preload_offset 0
		.amdhsa_user_sgpr_private_segment_size 0
		.amdhsa_wavefront_size32 1
		.amdhsa_uses_dynamic_stack 0
		.amdhsa_enable_private_segment 0
		.amdhsa_system_sgpr_workgroup_id_x 1
		.amdhsa_system_sgpr_workgroup_id_y 0
		.amdhsa_system_sgpr_workgroup_id_z 0
		.amdhsa_system_sgpr_workgroup_info 0
		.amdhsa_system_vgpr_workitem_id 0
		.amdhsa_next_free_vgpr 62
		.amdhsa_next_free_sgpr 8
		.amdhsa_named_barrier_count 0
		.amdhsa_reserve_vcc 1
		.amdhsa_float_round_mode_32 0
		.amdhsa_float_round_mode_16_64 0
		.amdhsa_float_denorm_mode_32 3
		.amdhsa_float_denorm_mode_16_64 3
		.amdhsa_fp16_overflow 0
		.amdhsa_memory_ordered 1
		.amdhsa_forward_progress 1
		.amdhsa_inst_pref_size 35
		.amdhsa_round_robin_scheduling 0
		.amdhsa_exception_fp_ieee_invalid_op 0
		.amdhsa_exception_fp_denorm_src 0
		.amdhsa_exception_fp_ieee_div_zero 0
		.amdhsa_exception_fp_ieee_overflow 0
		.amdhsa_exception_fp_ieee_underflow 0
		.amdhsa_exception_fp_ieee_inexact 0
		.amdhsa_exception_int_div_zero 0
	.end_amdhsa_kernel
	.section	.text._ZN9rocsparseL44gtsv_nopivot_strided_batch_pcr_shared_kernelILj64E21rocsparse_complex_numIdEEEviiiPKT0_S5_S5_PS3_,"axG",@progbits,_ZN9rocsparseL44gtsv_nopivot_strided_batch_pcr_shared_kernelILj64E21rocsparse_complex_numIdEEEviiiPKT0_S5_S5_PS3_,comdat
.Lfunc_end76:
	.size	_ZN9rocsparseL44gtsv_nopivot_strided_batch_pcr_shared_kernelILj64E21rocsparse_complex_numIdEEEviiiPKT0_S5_S5_PS3_, .Lfunc_end76-_ZN9rocsparseL44gtsv_nopivot_strided_batch_pcr_shared_kernelILj64E21rocsparse_complex_numIdEEEviiiPKT0_S5_S5_PS3_
                                        ; -- End function
	.set _ZN9rocsparseL44gtsv_nopivot_strided_batch_pcr_shared_kernelILj64E21rocsparse_complex_numIdEEEviiiPKT0_S5_S5_PS3_.num_vgpr, 62
	.set _ZN9rocsparseL44gtsv_nopivot_strided_batch_pcr_shared_kernelILj64E21rocsparse_complex_numIdEEEviiiPKT0_S5_S5_PS3_.num_agpr, 0
	.set _ZN9rocsparseL44gtsv_nopivot_strided_batch_pcr_shared_kernelILj64E21rocsparse_complex_numIdEEEviiiPKT0_S5_S5_PS3_.numbered_sgpr, 8
	.set _ZN9rocsparseL44gtsv_nopivot_strided_batch_pcr_shared_kernelILj64E21rocsparse_complex_numIdEEEviiiPKT0_S5_S5_PS3_.num_named_barrier, 0
	.set _ZN9rocsparseL44gtsv_nopivot_strided_batch_pcr_shared_kernelILj64E21rocsparse_complex_numIdEEEviiiPKT0_S5_S5_PS3_.private_seg_size, 0
	.set _ZN9rocsparseL44gtsv_nopivot_strided_batch_pcr_shared_kernelILj64E21rocsparse_complex_numIdEEEviiiPKT0_S5_S5_PS3_.uses_vcc, 1
	.set _ZN9rocsparseL44gtsv_nopivot_strided_batch_pcr_shared_kernelILj64E21rocsparse_complex_numIdEEEviiiPKT0_S5_S5_PS3_.uses_flat_scratch, 0
	.set _ZN9rocsparseL44gtsv_nopivot_strided_batch_pcr_shared_kernelILj64E21rocsparse_complex_numIdEEEviiiPKT0_S5_S5_PS3_.has_dyn_sized_stack, 0
	.set _ZN9rocsparseL44gtsv_nopivot_strided_batch_pcr_shared_kernelILj64E21rocsparse_complex_numIdEEEviiiPKT0_S5_S5_PS3_.has_recursion, 0
	.set _ZN9rocsparseL44gtsv_nopivot_strided_batch_pcr_shared_kernelILj64E21rocsparse_complex_numIdEEEviiiPKT0_S5_S5_PS3_.has_indirect_call, 0
	.section	.AMDGPU.csdata,"",@progbits
; Kernel info:
; codeLenInByte = 4384
; TotalNumSgprs: 10
; NumVgprs: 62
; ScratchSize: 0
; MemoryBound: 1
; FloatMode: 240
; IeeeMode: 1
; LDSByteSize: 5120 bytes/workgroup (compile time only)
; SGPRBlocks: 0
; VGPRBlocks: 3
; NumSGPRsForWavesPerEU: 10
; NumVGPRsForWavesPerEU: 62
; NamedBarCnt: 0
; Occupancy: 16
; WaveLimiterHint : 0
; COMPUTE_PGM_RSRC2:SCRATCH_EN: 0
; COMPUTE_PGM_RSRC2:USER_SGPR: 2
; COMPUTE_PGM_RSRC2:TRAP_HANDLER: 0
; COMPUTE_PGM_RSRC2:TGID_X_EN: 1
; COMPUTE_PGM_RSRC2:TGID_Y_EN: 0
; COMPUTE_PGM_RSRC2:TGID_Z_EN: 0
; COMPUTE_PGM_RSRC2:TIDIG_COMP_CNT: 0
	.section	.text._ZN9rocsparseL44gtsv_nopivot_strided_batch_pcr_shared_kernelILj128E21rocsparse_complex_numIdEEEviiiPKT0_S5_S5_PS3_,"axG",@progbits,_ZN9rocsparseL44gtsv_nopivot_strided_batch_pcr_shared_kernelILj128E21rocsparse_complex_numIdEEEviiiPKT0_S5_S5_PS3_,comdat
	.globl	_ZN9rocsparseL44gtsv_nopivot_strided_batch_pcr_shared_kernelILj128E21rocsparse_complex_numIdEEEviiiPKT0_S5_S5_PS3_ ; -- Begin function _ZN9rocsparseL44gtsv_nopivot_strided_batch_pcr_shared_kernelILj128E21rocsparse_complex_numIdEEEviiiPKT0_S5_S5_PS3_
	.p2align	8
	.type	_ZN9rocsparseL44gtsv_nopivot_strided_batch_pcr_shared_kernelILj128E21rocsparse_complex_numIdEEEviiiPKT0_S5_S5_PS3_,@function
_ZN9rocsparseL44gtsv_nopivot_strided_batch_pcr_shared_kernelILj128E21rocsparse_complex_numIdEEEviiiPKT0_S5_S5_PS3_: ; @_ZN9rocsparseL44gtsv_nopivot_strided_batch_pcr_shared_kernelILj128E21rocsparse_complex_numIdEEEviiiPKT0_S5_S5_PS3_
; %bb.0:
	s_clause 0x1
	s_load_b32 s2, s[0:1], 0x8
	s_load_b32 s3, s[0:1], 0x0
	s_bfe_u32 s4, ttmp6, 0x4000c
	s_and_b32 s5, ttmp6, 15
	s_add_co_i32 s4, s4, 1
	s_getreg_b32 s6, hwreg(HW_REG_IB_STS2, 6, 4)
	s_mul_i32 s4, ttmp9, s4
	v_mov_b64_e32 v[2:3], 0
	s_add_co_i32 s5, s5, s4
	s_cmp_eq_u32 s6, 0
	v_mov_b64_e32 v[6:7], 0
	s_cselect_b32 s4, ttmp9, s5
	v_mov_b64_e32 v[8:9], 0
	s_wait_kmcnt 0x0
	v_mad_u32 v1, s2, s4, v0
	v_cmp_gt_i32_e64 s2, s3, v0
	s_and_saveexec_b32 s4, s2
	s_cbranch_execz .LBB77_2
; %bb.1:
	s_load_b64 s[6:7], s[0:1], 0x10
	s_wait_kmcnt 0x0
	global_load_b128 v[6:9], v1, s[6:7] scale_offset
.LBB77_2:
	s_wait_xcnt 0x0
	s_or_b32 exec_lo, exec_lo, s4
	v_mov_b64_e32 v[4:5], 0
	v_lshlrev_b32_e32 v14, 4, v0
	s_wait_loadcnt 0x0
	ds_store_b128 v14, v[6:9]
	s_and_saveexec_b32 s4, s2
	s_cbranch_execz .LBB77_4
; %bb.3:
	s_load_b64 s[6:7], s[0:1], 0x18
	s_wait_kmcnt 0x0
	global_load_b128 v[2:5], v1, s[6:7] scale_offset
.LBB77_4:
	s_wait_xcnt 0x0
	s_or_b32 exec_lo, exec_lo, s4
	s_load_b64 s[4:5], s[0:1], 0x28
	v_mov_b64_e32 v[6:7], 0
	v_mov_b64_e32 v[10:11], 0
	;; [unrolled: 1-line block ×3, first 2 shown]
	s_wait_loadcnt 0x0
	ds_store_b128 v14, v[2:5] offset:2048
	s_and_saveexec_b32 s6, s2
	s_cbranch_execz .LBB77_6
; %bb.5:
	s_wait_xcnt 0x0
	s_load_b64 s[0:1], s[0:1], 0x20
	s_wait_kmcnt 0x0
	global_load_b128 v[10:13], v1, s[0:1] scale_offset
.LBB77_6:
	s_wait_xcnt 0x0
	s_or_b32 exec_lo, exec_lo, s6
	v_mov_b64_e32 v[8:9], 0
	s_wait_loadcnt 0x0
	ds_store_b128 v14, v[10:13] offset:4096
	s_and_saveexec_b32 s0, s2
	s_cbranch_execz .LBB77_8
; %bb.7:
	s_wait_kmcnt 0x0
	global_load_b128 v[6:9], v1, s[4:5] scale_offset
.LBB77_8:
	s_wait_xcnt 0x0
	s_or_b32 exec_lo, exec_lo, s0
	v_mov_b32_e32 v11, v0
	v_or_b32_e32 v13, 0x800, v14
	v_or_b32_e32 v12, 0x1000, v14
	;; [unrolled: 1-line block ×3, first 2 shown]
	s_add_co_i32 s1, s3, -1
	s_mov_b32 s6, 1
	s_mov_b32 s7, 6
	s_wait_loadcnt 0x0
	ds_store_b128 v14, v[6:9] offset:8192
	s_wait_dscnt 0x0
	s_barrier_signal -1
	s_barrier_wait -1
.LBB77_9:                               ; =>This Inner Loop Header: Depth=1
	v_subrev_nc_u32_e32 v2, s6, v0
	v_add_min_i32_e64 v6, s6, v0, s1
	s_add_co_i32 s7, s7, -1
	s_lshl_b32 s6, s6, 1
	s_cmp_eq_u32 s7, 0
	v_max_i32_e32 v2, 0, v2
	s_delay_alu instid0(VALU_DEP_1)
	v_lshlrev_b32_e32 v15, 4, v2
	ds_load_b128 v[2:5], v15 offset:2048
	v_lshlrev_b32_e32 v58, 4, v6
	ds_load_b128 v[6:9], v15
	ds_load_b128 v[16:19], v58 offset:2048
	ds_load_b128 v[20:23], v58
	s_wait_dscnt 0x3
	v_mul_f64_e32 v[40:41], v[4:5], v[4:5]
	s_wait_dscnt 0x1
	v_mul_f64_e32 v[42:43], v[18:19], v[18:19]
	s_delay_alu instid0(VALU_DEP_2) | instskip(NEXT) | instid1(VALU_DEP_2)
	v_fmac_f64_e32 v[40:41], v[2:3], v[2:3]
	v_fmac_f64_e32 v[42:43], v[16:17], v[16:17]
	s_delay_alu instid0(VALU_DEP_2) | instskip(NEXT) | instid1(VALU_DEP_2)
	v_div_scale_f64 v[24:25], null, v[40:41], v[40:41], 1.0
	v_div_scale_f64 v[32:33], null, v[42:43], v[42:43], 1.0
	v_div_scale_f64 v[36:37], s0, 1.0, v[42:43], 1.0
	s_delay_alu instid0(VALU_DEP_3) | instskip(NEXT) | instid1(VALU_DEP_2)
	v_rcp_f64_e32 v[34:35], v[24:25]
	v_rcp_f64_e32 v[44:45], v[32:33]
	s_delay_alu instid0(TRANS32_DEP_2) | instskip(NEXT) | instid1(TRANS32_DEP_1)
	v_fma_f64 v[26:27], -v[24:25], v[34:35], 1.0
	v_fma_f64 v[28:29], -v[32:33], v[44:45], 1.0
	s_delay_alu instid0(VALU_DEP_2) | instskip(NEXT) | instid1(VALU_DEP_2)
	v_fmac_f64_e32 v[34:35], v[34:35], v[26:27]
	v_fmac_f64_e32 v[44:45], v[44:45], v[28:29]
	v_div_scale_f64 v[28:29], vcc_lo, 1.0, v[40:41], 1.0
	s_delay_alu instid0(VALU_DEP_3) | instskip(NEXT) | instid1(VALU_DEP_3)
	v_fma_f64 v[26:27], -v[24:25], v[34:35], 1.0
	v_fma_f64 v[30:31], -v[32:33], v[44:45], 1.0
	s_delay_alu instid0(VALU_DEP_2) | instskip(NEXT) | instid1(VALU_DEP_2)
	v_fmac_f64_e32 v[34:35], v[34:35], v[26:27]
	v_fmac_f64_e32 v[44:45], v[44:45], v[30:31]
	s_delay_alu instid0(VALU_DEP_2) | instskip(NEXT) | instid1(VALU_DEP_2)
	v_mul_f64_e32 v[38:39], v[28:29], v[34:35]
	v_mul_f64_e32 v[46:47], v[36:37], v[44:45]
	s_delay_alu instid0(VALU_DEP_2)
	v_fma_f64 v[48:49], -v[24:25], v[38:39], v[28:29]
	ds_load_b128 v[24:27], v14
	ds_load_b128 v[28:31], v13
	v_fma_f64 v[52:53], -v[32:33], v[46:47], v[36:37]
	s_wait_dscnt 0x1
	v_mul_f64_e64 v[50:51], v[4:5], -v[24:25]
	v_mul_f64_e32 v[56:57], v[4:5], v[26:27]
	v_div_fmas_f64 v[48:49], v[48:49], v[34:35], v[38:39]
	ds_load_b128 v[32:35], v12
	ds_load_b128 v[36:39], v10
	s_mov_b32 vcc_lo, s0
	v_div_fmas_f64 v[4:5], v[52:53], v[44:45], v[46:47]
	s_wait_dscnt 0x1
	v_mul_f64_e64 v[54:55], v[18:19], -v[32:33]
	v_fmac_f64_e32 v[50:51], v[26:27], v[2:3]
	v_mul_f64_e32 v[44:45], v[18:19], v[34:35]
	v_fmac_f64_e32 v[56:57], v[24:25], v[2:3]
	v_div_fixup_f64 v[40:41], v[48:49], v[40:41], 1.0
	v_div_fixup_f64 v[42:43], v[4:5], v[42:43], 1.0
	ds_load_b128 v[2:5], v15 offset:4096
	ds_load_b128 v[24:27], v15 offset:8192
	v_fmac_f64_e32 v[54:55], v[34:35], v[16:17]
	v_fmac_f64_e32 v[44:45], v[32:33], v[16:17]
	ds_load_b128 v[16:19], v58 offset:8192
	ds_load_b128 v[32:35], v58 offset:4096
	s_wait_dscnt 0x0
	s_barrier_signal -1
	s_barrier_wait -1
	v_mul_f64_e32 v[46:47], v[40:41], v[50:51]
	v_mul_f64_e32 v[40:41], v[40:41], v[56:57]
	;; [unrolled: 1-line block ×4, first 2 shown]
	s_delay_alu instid0(VALU_DEP_4)
	v_mul_f64_e64 v[50:51], v[46:47], -v[4:5]
	v_mul_f64_e32 v[52:53], v[46:47], v[2:3]
	v_mul_f64_e64 v[54:55], v[46:47], -v[26:27]
	v_mul_f64_e32 v[56:57], v[46:47], v[24:25]
	;; [unrolled: 2-line block ×4, first 2 shown]
	v_fmac_f64_e32 v[50:51], v[2:3], v[40:41]
	v_fmac_f64_e32 v[52:53], v[4:5], v[40:41]
	;; [unrolled: 1-line block ×4, first 2 shown]
	v_mul_f64_e32 v[2:3], v[46:47], v[8:9]
	v_mul_f64_e64 v[4:5], v[46:47], -v[6:7]
	v_mul_f64_e32 v[24:25], v[48:49], v[34:35]
	v_mul_f64_e64 v[26:27], v[48:49], -v[32:33]
	v_fmac_f64_e32 v[44:45], v[20:21], v[42:43]
	v_fmac_f64_e32 v[58:59], v[22:23], v[42:43]
	;; [unrolled: 1-line block ×4, first 2 shown]
	v_add_f64_e64 v[16:17], v[28:29], -v[50:51]
	v_add_f64_e64 v[18:19], v[30:31], -v[52:53]
	;; [unrolled: 1-line block ×4, first 2 shown]
	v_fma_f64 v[2:3], -v[6:7], v[40:41], v[2:3]
	v_fma_f64 v[4:5], -v[8:9], v[40:41], v[4:5]
	;; [unrolled: 1-line block ×4, first 2 shown]
	v_add_f64_e64 v[16:17], v[16:17], -v[44:45]
	v_add_f64_e64 v[18:19], v[18:19], -v[58:59]
	;; [unrolled: 1-line block ×4, first 2 shown]
	ds_store_b128 v13, v[16:19]
	ds_store_b128 v14, v[2:5]
	;; [unrolled: 1-line block ×4, first 2 shown]
	s_wait_dscnt 0x0
	s_barrier_signal -1
	s_barrier_wait -1
	s_cbranch_scc0 .LBB77_9
; %bb.10:
	s_mov_b32 s0, exec_lo
	v_cmpx_gt_u32_e32 64, v0
	s_cbranch_execz .LBB77_16
; %bb.11:
	v_or_b32_e32 v6, 64, v0
	s_mov_b32 s1, exec_lo
                                        ; implicit-def: $vgpr4_vgpr5
	s_delay_alu instid0(VALU_DEP_1)
	v_cmpx_le_i32_e64 s3, v6
	s_xor_b32 s1, exec_lo, s1
	s_cbranch_execz .LBB77_13
; %bb.12:
	ds_load_b128 v[2:5], v13
	ds_load_b128 v[6:9], v10
                                        ; implicit-def: $vgpr10
	s_wait_dscnt 0x1
	v_mul_f64_e32 v[12:13], v[4:5], v[4:5]
	s_delay_alu instid0(VALU_DEP_1) | instskip(NEXT) | instid1(VALU_DEP_1)
	v_fmac_f64_e32 v[12:13], v[2:3], v[2:3]
	v_div_scale_f64 v[14:15], null, v[12:13], v[12:13], 1.0
	v_div_scale_f64 v[20:21], vcc_lo, 1.0, v[12:13], 1.0
	s_delay_alu instid0(VALU_DEP_2) | instskip(SKIP_1) | instid1(TRANS32_DEP_1)
	v_rcp_f64_e32 v[16:17], v[14:15]
	v_nop
	v_fma_f64 v[18:19], -v[14:15], v[16:17], 1.0
	s_delay_alu instid0(VALU_DEP_1) | instskip(NEXT) | instid1(VALU_DEP_1)
	v_fmac_f64_e32 v[16:17], v[16:17], v[18:19]
	v_fma_f64 v[18:19], -v[14:15], v[16:17], 1.0
	s_delay_alu instid0(VALU_DEP_1) | instskip(NEXT) | instid1(VALU_DEP_1)
	v_fmac_f64_e32 v[16:17], v[16:17], v[18:19]
	v_mul_f64_e32 v[18:19], v[20:21], v[16:17]
	s_delay_alu instid0(VALU_DEP_1) | instskip(SKIP_3) | instid1(VALU_DEP_3)
	v_fma_f64 v[14:15], -v[14:15], v[18:19], v[20:21]
	s_wait_dscnt 0x0
	v_mul_f64_e32 v[20:21], v[4:5], v[8:9]
	v_mul_f64_e64 v[4:5], v[4:5], -v[6:7]
	v_div_fmas_f64 v[14:15], v[14:15], v[16:17], v[18:19]
	s_delay_alu instid0(VALU_DEP_3) | instskip(NEXT) | instid1(VALU_DEP_3)
	v_fmac_f64_e32 v[20:21], v[6:7], v[2:3]
	v_fmac_f64_e32 v[4:5], v[8:9], v[2:3]
	s_delay_alu instid0(VALU_DEP_3) | instskip(NEXT) | instid1(VALU_DEP_1)
	v_div_fixup_f64 v[6:7], v[14:15], v[12:13], 1.0
                                        ; implicit-def: $vgpr13
                                        ; implicit-def: $vgpr14
                                        ; implicit-def: $vgpr12
	v_mul_f64_e32 v[2:3], v[6:7], v[20:21]
	s_delay_alu instid0(VALU_DEP_3)
	v_mul_f64_e32 v[4:5], v[6:7], v[4:5]
                                        ; implicit-def: $vgpr6
.LBB77_13:
	s_and_not1_saveexec_b32 s1, s1
	s_cbranch_execz .LBB77_15
; %bb.14:
	ds_load_b128 v[2:5], v13
	ds_load_b128 v[16:19], v13 offset:1024
	ds_load_b128 v[20:23], v14 offset:1024
	ds_load_b128 v[24:27], v12
	s_wait_dscnt 0x2
	v_mul_f64_e32 v[8:9], v[4:5], v[16:17]
	v_mul_f64_e64 v[28:29], v[4:5], -v[18:19]
	s_wait_dscnt 0x0
	v_mul_f64_e32 v[12:13], v[22:23], v[24:25]
	v_mul_f64_e64 v[30:31], v[22:23], -v[26:27]
	s_delay_alu instid0(VALU_DEP_4) | instskip(NEXT) | instid1(VALU_DEP_4)
	v_fmac_f64_e32 v[8:9], v[18:19], v[2:3]
	v_fmac_f64_e32 v[28:29], v[16:17], v[2:3]
	s_delay_alu instid0(VALU_DEP_4) | instskip(NEXT) | instid1(VALU_DEP_4)
	v_fmac_f64_e32 v[12:13], v[26:27], v[20:21]
	v_fmac_f64_e32 v[30:31], v[24:25], v[20:21]
	s_delay_alu instid0(VALU_DEP_2) | instskip(NEXT) | instid1(VALU_DEP_2)
	v_add_f64_e64 v[12:13], v[8:9], -v[12:13]
	v_add_f64_e64 v[32:33], v[28:29], -v[30:31]
	s_delay_alu instid0(VALU_DEP_2) | instskip(NEXT) | instid1(VALU_DEP_1)
	v_mul_f64_e32 v[34:35], v[12:13], v[12:13]
	v_fmac_f64_e32 v[34:35], v[32:33], v[32:33]
	s_delay_alu instid0(VALU_DEP_1) | instskip(SKIP_1) | instid1(VALU_DEP_2)
	v_div_scale_f64 v[8:9], null, v[34:35], v[34:35], 1.0
	v_div_scale_f64 v[30:31], vcc_lo, 1.0, v[34:35], 1.0
	v_rcp_f64_e32 v[36:37], v[8:9]
	v_nop
	s_delay_alu instid0(TRANS32_DEP_1) | instskip(NEXT) | instid1(VALU_DEP_1)
	v_fma_f64 v[28:29], -v[8:9], v[36:37], 1.0
	v_fmac_f64_e32 v[36:37], v[36:37], v[28:29]
	s_delay_alu instid0(VALU_DEP_1) | instskip(NEXT) | instid1(VALU_DEP_1)
	v_fma_f64 v[28:29], -v[8:9], v[36:37], 1.0
	v_fmac_f64_e32 v[36:37], v[36:37], v[28:29]
	s_delay_alu instid0(VALU_DEP_1) | instskip(NEXT) | instid1(VALU_DEP_1)
	v_mul_f64_e32 v[38:39], v[30:31], v[36:37]
	v_fma_f64 v[40:41], -v[8:9], v[38:39], v[30:31]
	ds_load_b128 v[28:31], v10
	ds_load_b128 v[8:11], v10 offset:1024
	s_wait_dscnt 0x1
	v_mul_f64_e64 v[42:43], v[30:31], -v[18:19]
	v_mul_f64_e32 v[44:45], v[16:17], v[30:31]
	s_wait_dscnt 0x0
	v_mul_f64_e64 v[46:47], v[10:11], -v[26:27]
	v_mul_f64_e32 v[48:49], v[24:25], v[10:11]
	v_mul_f64_e64 v[50:51], v[4:5], -v[10:11]
	v_mul_f64_e32 v[4:5], v[4:5], v[8:9]
	v_div_fmas_f64 v[36:37], v[40:41], v[36:37], v[38:39]
	v_mul_f64_e32 v[38:39], v[22:23], v[28:29]
	v_mul_f64_e64 v[22:23], v[22:23], -v[30:31]
	v_fmac_f64_e32 v[42:43], v[16:17], v[28:29]
	v_fmac_f64_e32 v[44:45], v[18:19], v[28:29]
	;; [unrolled: 1-line block ×5, first 2 shown]
	v_fma_f64 v[8:9], v[32:33], 0, -v[12:13]
	v_fmac_f64_e32 v[4:5], v[10:11], v[2:3]
	v_fma_f64 v[2:3], 0, v[12:13], v[32:33]
	v_div_fixup_f64 v[16:17], v[36:37], v[34:35], 1.0
	v_fmac_f64_e32 v[38:39], v[30:31], v[20:21]
	v_fmac_f64_e32 v[22:23], v[28:29], v[20:21]
	v_add_f64_e64 v[12:13], v[42:43], -v[46:47]
	v_add_f64_e64 v[10:11], v[44:45], -v[48:49]
	v_mul_f64_e32 v[8:9], v[8:9], v[16:17]
	v_add_f64_e64 v[20:21], v[4:5], -v[38:39]
	v_add_f64_e64 v[22:23], v[50:51], -v[22:23]
	v_mul_f64_e32 v[24:25], v[2:3], v[16:17]
	s_delay_alu instid0(VALU_DEP_4) | instskip(SKIP_3) | instid1(VALU_DEP_4)
	v_mul_f64_e64 v[16:17], v[8:9], -v[10:11]
	v_mul_f64_e32 v[18:19], v[8:9], v[12:13]
	v_mul_f64_e64 v[2:3], v[8:9], -v[20:21]
	v_mul_f64_e32 v[4:5], v[8:9], v[22:23]
	v_fmac_f64_e32 v[16:17], v[12:13], v[24:25]
	s_delay_alu instid0(VALU_DEP_4) | instskip(NEXT) | instid1(VALU_DEP_4)
	v_fmac_f64_e32 v[18:19], v[10:11], v[24:25]
	v_fmac_f64_e32 v[2:3], v[22:23], v[24:25]
	s_delay_alu instid0(VALU_DEP_4)
	v_fmac_f64_e32 v[4:5], v[20:21], v[24:25]
	v_mov_b32_e32 v11, v6
	ds_store_b128 v14, v[16:19] offset:6144
.LBB77_15:
	s_or_b32 exec_lo, exec_lo, s1
	v_lshlrev_b32_e32 v6, 4, v11
	ds_store_b128 v6, v[2:5] offset:6144
.LBB77_16:
	s_or_b32 exec_lo, exec_lo, s0
	s_wait_dscnt 0x0
	s_barrier_signal -1
	s_barrier_wait -1
	s_and_saveexec_b32 s0, s2
	s_cbranch_execz .LBB77_18
; %bb.17:
	v_lshl_or_b32 v0, v0, 4, 0x1800
	ds_load_2addr_b64 v[2:5], v0 offset1:1
	s_wait_dscnt 0x0
	s_wait_kmcnt 0x0
	global_store_b128 v1, v[2:5], s[4:5] scale_offset
.LBB77_18:
	s_endpgm
	.section	.rodata,"a",@progbits
	.p2align	6, 0x0
	.amdhsa_kernel _ZN9rocsparseL44gtsv_nopivot_strided_batch_pcr_shared_kernelILj128E21rocsparse_complex_numIdEEEviiiPKT0_S5_S5_PS3_
		.amdhsa_group_segment_fixed_size 10240
		.amdhsa_private_segment_fixed_size 0
		.amdhsa_kernarg_size 48
		.amdhsa_user_sgpr_count 2
		.amdhsa_user_sgpr_dispatch_ptr 0
		.amdhsa_user_sgpr_queue_ptr 0
		.amdhsa_user_sgpr_kernarg_segment_ptr 1
		.amdhsa_user_sgpr_dispatch_id 0
		.amdhsa_user_sgpr_kernarg_preload_length 0
		.amdhsa_user_sgpr_kernarg_preload_offset 0
		.amdhsa_user_sgpr_private_segment_size 0
		.amdhsa_wavefront_size32 1
		.amdhsa_uses_dynamic_stack 0
		.amdhsa_enable_private_segment 0
		.amdhsa_system_sgpr_workgroup_id_x 1
		.amdhsa_system_sgpr_workgroup_id_y 0
		.amdhsa_system_sgpr_workgroup_id_z 0
		.amdhsa_system_sgpr_workgroup_info 0
		.amdhsa_system_vgpr_workitem_id 0
		.amdhsa_next_free_vgpr 64
		.amdhsa_next_free_sgpr 8
		.amdhsa_named_barrier_count 0
		.amdhsa_reserve_vcc 1
		.amdhsa_float_round_mode_32 0
		.amdhsa_float_round_mode_16_64 0
		.amdhsa_float_denorm_mode_32 3
		.amdhsa_float_denorm_mode_16_64 3
		.amdhsa_fp16_overflow 0
		.amdhsa_memory_ordered 1
		.amdhsa_forward_progress 1
		.amdhsa_inst_pref_size 14
		.amdhsa_round_robin_scheduling 0
		.amdhsa_exception_fp_ieee_invalid_op 0
		.amdhsa_exception_fp_denorm_src 0
		.amdhsa_exception_fp_ieee_div_zero 0
		.amdhsa_exception_fp_ieee_overflow 0
		.amdhsa_exception_fp_ieee_underflow 0
		.amdhsa_exception_fp_ieee_inexact 0
		.amdhsa_exception_int_div_zero 0
	.end_amdhsa_kernel
	.section	.text._ZN9rocsparseL44gtsv_nopivot_strided_batch_pcr_shared_kernelILj128E21rocsparse_complex_numIdEEEviiiPKT0_S5_S5_PS3_,"axG",@progbits,_ZN9rocsparseL44gtsv_nopivot_strided_batch_pcr_shared_kernelILj128E21rocsparse_complex_numIdEEEviiiPKT0_S5_S5_PS3_,comdat
.Lfunc_end77:
	.size	_ZN9rocsparseL44gtsv_nopivot_strided_batch_pcr_shared_kernelILj128E21rocsparse_complex_numIdEEEviiiPKT0_S5_S5_PS3_, .Lfunc_end77-_ZN9rocsparseL44gtsv_nopivot_strided_batch_pcr_shared_kernelILj128E21rocsparse_complex_numIdEEEviiiPKT0_S5_S5_PS3_
                                        ; -- End function
	.set _ZN9rocsparseL44gtsv_nopivot_strided_batch_pcr_shared_kernelILj128E21rocsparse_complex_numIdEEEviiiPKT0_S5_S5_PS3_.num_vgpr, 64
	.set _ZN9rocsparseL44gtsv_nopivot_strided_batch_pcr_shared_kernelILj128E21rocsparse_complex_numIdEEEviiiPKT0_S5_S5_PS3_.num_agpr, 0
	.set _ZN9rocsparseL44gtsv_nopivot_strided_batch_pcr_shared_kernelILj128E21rocsparse_complex_numIdEEEviiiPKT0_S5_S5_PS3_.numbered_sgpr, 8
	.set _ZN9rocsparseL44gtsv_nopivot_strided_batch_pcr_shared_kernelILj128E21rocsparse_complex_numIdEEEviiiPKT0_S5_S5_PS3_.num_named_barrier, 0
	.set _ZN9rocsparseL44gtsv_nopivot_strided_batch_pcr_shared_kernelILj128E21rocsparse_complex_numIdEEEviiiPKT0_S5_S5_PS3_.private_seg_size, 0
	.set _ZN9rocsparseL44gtsv_nopivot_strided_batch_pcr_shared_kernelILj128E21rocsparse_complex_numIdEEEviiiPKT0_S5_S5_PS3_.uses_vcc, 1
	.set _ZN9rocsparseL44gtsv_nopivot_strided_batch_pcr_shared_kernelILj128E21rocsparse_complex_numIdEEEviiiPKT0_S5_S5_PS3_.uses_flat_scratch, 0
	.set _ZN9rocsparseL44gtsv_nopivot_strided_batch_pcr_shared_kernelILj128E21rocsparse_complex_numIdEEEviiiPKT0_S5_S5_PS3_.has_dyn_sized_stack, 0
	.set _ZN9rocsparseL44gtsv_nopivot_strided_batch_pcr_shared_kernelILj128E21rocsparse_complex_numIdEEEviiiPKT0_S5_S5_PS3_.has_recursion, 0
	.set _ZN9rocsparseL44gtsv_nopivot_strided_batch_pcr_shared_kernelILj128E21rocsparse_complex_numIdEEEviiiPKT0_S5_S5_PS3_.has_indirect_call, 0
	.section	.AMDGPU.csdata,"",@progbits
; Kernel info:
; codeLenInByte = 1784
; TotalNumSgprs: 10
; NumVgprs: 64
; ScratchSize: 0
; MemoryBound: 1
; FloatMode: 240
; IeeeMode: 1
; LDSByteSize: 10240 bytes/workgroup (compile time only)
; SGPRBlocks: 0
; VGPRBlocks: 3
; NumSGPRsForWavesPerEU: 10
; NumVGPRsForWavesPerEU: 64
; NamedBarCnt: 0
; Occupancy: 16
; WaveLimiterHint : 0
; COMPUTE_PGM_RSRC2:SCRATCH_EN: 0
; COMPUTE_PGM_RSRC2:USER_SGPR: 2
; COMPUTE_PGM_RSRC2:TRAP_HANDLER: 0
; COMPUTE_PGM_RSRC2:TGID_X_EN: 1
; COMPUTE_PGM_RSRC2:TGID_Y_EN: 0
; COMPUTE_PGM_RSRC2:TGID_Z_EN: 0
; COMPUTE_PGM_RSRC2:TIDIG_COMP_CNT: 0
	.section	.text._ZN9rocsparseL44gtsv_nopivot_strided_batch_pcr_shared_kernelILj256E21rocsparse_complex_numIdEEEviiiPKT0_S5_S5_PS3_,"axG",@progbits,_ZN9rocsparseL44gtsv_nopivot_strided_batch_pcr_shared_kernelILj256E21rocsparse_complex_numIdEEEviiiPKT0_S5_S5_PS3_,comdat
	.globl	_ZN9rocsparseL44gtsv_nopivot_strided_batch_pcr_shared_kernelILj256E21rocsparse_complex_numIdEEEviiiPKT0_S5_S5_PS3_ ; -- Begin function _ZN9rocsparseL44gtsv_nopivot_strided_batch_pcr_shared_kernelILj256E21rocsparse_complex_numIdEEEviiiPKT0_S5_S5_PS3_
	.p2align	8
	.type	_ZN9rocsparseL44gtsv_nopivot_strided_batch_pcr_shared_kernelILj256E21rocsparse_complex_numIdEEEviiiPKT0_S5_S5_PS3_,@function
_ZN9rocsparseL44gtsv_nopivot_strided_batch_pcr_shared_kernelILj256E21rocsparse_complex_numIdEEEviiiPKT0_S5_S5_PS3_: ; @_ZN9rocsparseL44gtsv_nopivot_strided_batch_pcr_shared_kernelILj256E21rocsparse_complex_numIdEEEviiiPKT0_S5_S5_PS3_
; %bb.0:
	s_clause 0x1
	s_load_b32 s2, s[0:1], 0x8
	s_load_b32 s3, s[0:1], 0x0
	s_bfe_u32 s4, ttmp6, 0x4000c
	s_and_b32 s5, ttmp6, 15
	s_add_co_i32 s4, s4, 1
	s_getreg_b32 s6, hwreg(HW_REG_IB_STS2, 6, 4)
	s_mul_i32 s4, ttmp9, s4
	v_mov_b64_e32 v[2:3], 0
	s_add_co_i32 s5, s5, s4
	s_cmp_eq_u32 s6, 0
	v_mov_b64_e32 v[6:7], 0
	s_cselect_b32 s4, ttmp9, s5
	v_mov_b64_e32 v[8:9], 0
	s_wait_kmcnt 0x0
	v_mad_u32 v1, s2, s4, v0
	v_cmp_gt_i32_e64 s2, s3, v0
	s_and_saveexec_b32 s4, s2
	s_cbranch_execz .LBB78_2
; %bb.1:
	s_load_b64 s[6:7], s[0:1], 0x10
	s_wait_kmcnt 0x0
	global_load_b128 v[6:9], v1, s[6:7] scale_offset
.LBB78_2:
	s_wait_xcnt 0x0
	s_or_b32 exec_lo, exec_lo, s4
	v_mov_b64_e32 v[4:5], 0
	v_lshlrev_b32_e32 v14, 4, v0
	s_wait_loadcnt 0x0
	ds_store_b128 v14, v[6:9]
	s_and_saveexec_b32 s4, s2
	s_cbranch_execz .LBB78_4
; %bb.3:
	s_load_b64 s[6:7], s[0:1], 0x18
	s_wait_kmcnt 0x0
	global_load_b128 v[2:5], v1, s[6:7] scale_offset
.LBB78_4:
	s_wait_xcnt 0x0
	s_or_b32 exec_lo, exec_lo, s4
	s_load_b64 s[4:5], s[0:1], 0x28
	v_mov_b64_e32 v[6:7], 0
	v_mov_b64_e32 v[10:11], 0
	;; [unrolled: 1-line block ×3, first 2 shown]
	s_wait_loadcnt 0x0
	ds_store_b128 v14, v[2:5] offset:4096
	s_and_saveexec_b32 s6, s2
	s_cbranch_execz .LBB78_6
; %bb.5:
	s_wait_xcnt 0x0
	s_load_b64 s[0:1], s[0:1], 0x20
	s_wait_kmcnt 0x0
	global_load_b128 v[10:13], v1, s[0:1] scale_offset
.LBB78_6:
	s_wait_xcnt 0x0
	s_or_b32 exec_lo, exec_lo, s6
	v_mov_b64_e32 v[8:9], 0
	s_wait_loadcnt 0x0
	ds_store_b128 v14, v[10:13] offset:8192
	s_and_saveexec_b32 s0, s2
	s_cbranch_execz .LBB78_8
; %bb.7:
	s_wait_kmcnt 0x0
	global_load_b128 v[6:9], v1, s[4:5] scale_offset
.LBB78_8:
	s_wait_xcnt 0x0
	s_or_b32 exec_lo, exec_lo, s0
	v_mov_b32_e32 v11, v0
	v_or_b32_e32 v13, 0x1000, v14
	v_or_b32_e32 v12, 0x2000, v14
	;; [unrolled: 1-line block ×3, first 2 shown]
	s_add_co_i32 s1, s3, -1
	s_mov_b32 s6, 1
	s_mov_b32 s7, 7
	s_wait_loadcnt 0x0
	ds_store_b128 v14, v[6:9] offset:16384
	s_wait_dscnt 0x0
	s_barrier_signal -1
	s_barrier_wait -1
.LBB78_9:                               ; =>This Inner Loop Header: Depth=1
	v_subrev_nc_u32_e32 v2, s6, v0
	v_add_min_i32_e64 v6, s6, v0, s1
	s_add_co_i32 s7, s7, -1
	s_lshl_b32 s6, s6, 1
	s_cmp_eq_u32 s7, 0
	v_max_i32_e32 v2, 0, v2
	s_delay_alu instid0(VALU_DEP_1)
	v_lshlrev_b32_e32 v15, 4, v2
	ds_load_b128 v[2:5], v15 offset:4096
	v_lshlrev_b32_e32 v58, 4, v6
	ds_load_b128 v[6:9], v15
	ds_load_b128 v[16:19], v58 offset:4096
	ds_load_b128 v[20:23], v58
	s_wait_dscnt 0x3
	v_mul_f64_e32 v[40:41], v[4:5], v[4:5]
	s_wait_dscnt 0x1
	v_mul_f64_e32 v[42:43], v[18:19], v[18:19]
	s_delay_alu instid0(VALU_DEP_2) | instskip(NEXT) | instid1(VALU_DEP_2)
	v_fmac_f64_e32 v[40:41], v[2:3], v[2:3]
	v_fmac_f64_e32 v[42:43], v[16:17], v[16:17]
	s_delay_alu instid0(VALU_DEP_2) | instskip(NEXT) | instid1(VALU_DEP_2)
	v_div_scale_f64 v[24:25], null, v[40:41], v[40:41], 1.0
	v_div_scale_f64 v[32:33], null, v[42:43], v[42:43], 1.0
	v_div_scale_f64 v[36:37], s0, 1.0, v[42:43], 1.0
	s_delay_alu instid0(VALU_DEP_3) | instskip(NEXT) | instid1(VALU_DEP_2)
	v_rcp_f64_e32 v[34:35], v[24:25]
	v_rcp_f64_e32 v[44:45], v[32:33]
	s_delay_alu instid0(TRANS32_DEP_2) | instskip(NEXT) | instid1(TRANS32_DEP_1)
	v_fma_f64 v[26:27], -v[24:25], v[34:35], 1.0
	v_fma_f64 v[28:29], -v[32:33], v[44:45], 1.0
	s_delay_alu instid0(VALU_DEP_2) | instskip(NEXT) | instid1(VALU_DEP_2)
	v_fmac_f64_e32 v[34:35], v[34:35], v[26:27]
	v_fmac_f64_e32 v[44:45], v[44:45], v[28:29]
	v_div_scale_f64 v[28:29], vcc_lo, 1.0, v[40:41], 1.0
	s_delay_alu instid0(VALU_DEP_3) | instskip(NEXT) | instid1(VALU_DEP_3)
	v_fma_f64 v[26:27], -v[24:25], v[34:35], 1.0
	v_fma_f64 v[30:31], -v[32:33], v[44:45], 1.0
	s_delay_alu instid0(VALU_DEP_2) | instskip(NEXT) | instid1(VALU_DEP_2)
	v_fmac_f64_e32 v[34:35], v[34:35], v[26:27]
	v_fmac_f64_e32 v[44:45], v[44:45], v[30:31]
	s_delay_alu instid0(VALU_DEP_2) | instskip(NEXT) | instid1(VALU_DEP_2)
	v_mul_f64_e32 v[38:39], v[28:29], v[34:35]
	v_mul_f64_e32 v[46:47], v[36:37], v[44:45]
	s_delay_alu instid0(VALU_DEP_2)
	v_fma_f64 v[48:49], -v[24:25], v[38:39], v[28:29]
	ds_load_b128 v[24:27], v14
	ds_load_b128 v[28:31], v13
	v_fma_f64 v[52:53], -v[32:33], v[46:47], v[36:37]
	s_wait_dscnt 0x1
	v_mul_f64_e64 v[50:51], v[4:5], -v[24:25]
	v_mul_f64_e32 v[56:57], v[4:5], v[26:27]
	v_div_fmas_f64 v[48:49], v[48:49], v[34:35], v[38:39]
	ds_load_b128 v[32:35], v12
	ds_load_b128 v[36:39], v10
	s_mov_b32 vcc_lo, s0
	v_div_fmas_f64 v[4:5], v[52:53], v[44:45], v[46:47]
	s_wait_dscnt 0x1
	v_mul_f64_e64 v[54:55], v[18:19], -v[32:33]
	v_fmac_f64_e32 v[50:51], v[26:27], v[2:3]
	v_mul_f64_e32 v[44:45], v[18:19], v[34:35]
	v_fmac_f64_e32 v[56:57], v[24:25], v[2:3]
	v_div_fixup_f64 v[40:41], v[48:49], v[40:41], 1.0
	v_div_fixup_f64 v[42:43], v[4:5], v[42:43], 1.0
	ds_load_b128 v[2:5], v15 offset:8192
	ds_load_b128 v[24:27], v15 offset:16384
	v_fmac_f64_e32 v[54:55], v[34:35], v[16:17]
	v_fmac_f64_e32 v[44:45], v[32:33], v[16:17]
	ds_load_b128 v[16:19], v58 offset:16384
	ds_load_b128 v[32:35], v58 offset:8192
	s_wait_dscnt 0x0
	s_barrier_signal -1
	s_barrier_wait -1
	v_mul_f64_e32 v[46:47], v[40:41], v[50:51]
	v_mul_f64_e32 v[40:41], v[40:41], v[56:57]
	;; [unrolled: 1-line block ×4, first 2 shown]
	s_delay_alu instid0(VALU_DEP_4)
	v_mul_f64_e64 v[50:51], v[46:47], -v[4:5]
	v_mul_f64_e32 v[52:53], v[46:47], v[2:3]
	v_mul_f64_e64 v[54:55], v[46:47], -v[26:27]
	v_mul_f64_e32 v[56:57], v[46:47], v[24:25]
	;; [unrolled: 2-line block ×4, first 2 shown]
	v_fmac_f64_e32 v[50:51], v[2:3], v[40:41]
	v_fmac_f64_e32 v[52:53], v[4:5], v[40:41]
	;; [unrolled: 1-line block ×4, first 2 shown]
	v_mul_f64_e32 v[2:3], v[46:47], v[8:9]
	v_mul_f64_e64 v[4:5], v[46:47], -v[6:7]
	v_mul_f64_e32 v[24:25], v[48:49], v[34:35]
	v_mul_f64_e64 v[26:27], v[48:49], -v[32:33]
	v_fmac_f64_e32 v[44:45], v[20:21], v[42:43]
	v_fmac_f64_e32 v[58:59], v[22:23], v[42:43]
	;; [unrolled: 1-line block ×4, first 2 shown]
	v_add_f64_e64 v[16:17], v[28:29], -v[50:51]
	v_add_f64_e64 v[18:19], v[30:31], -v[52:53]
	;; [unrolled: 1-line block ×4, first 2 shown]
	v_fma_f64 v[2:3], -v[6:7], v[40:41], v[2:3]
	v_fma_f64 v[4:5], -v[8:9], v[40:41], v[4:5]
	;; [unrolled: 1-line block ×4, first 2 shown]
	v_add_f64_e64 v[16:17], v[16:17], -v[44:45]
	v_add_f64_e64 v[18:19], v[18:19], -v[58:59]
	;; [unrolled: 1-line block ×4, first 2 shown]
	ds_store_b128 v13, v[16:19]
	ds_store_b128 v14, v[2:5]
	;; [unrolled: 1-line block ×4, first 2 shown]
	s_wait_dscnt 0x0
	s_barrier_signal -1
	s_barrier_wait -1
	s_cbranch_scc0 .LBB78_9
; %bb.10:
	s_mov_b32 s0, exec_lo
	v_cmpx_gt_u32_e32 0x80, v0
	s_cbranch_execz .LBB78_16
; %bb.11:
	v_or_b32_e32 v6, 0x80, v0
	s_mov_b32 s1, exec_lo
                                        ; implicit-def: $vgpr4_vgpr5
	s_delay_alu instid0(VALU_DEP_1)
	v_cmpx_le_i32_e64 s3, v6
	s_xor_b32 s1, exec_lo, s1
	s_cbranch_execz .LBB78_13
; %bb.12:
	ds_load_b128 v[2:5], v13
	ds_load_b128 v[6:9], v10
                                        ; implicit-def: $vgpr10
	s_wait_dscnt 0x1
	v_mul_f64_e32 v[12:13], v[4:5], v[4:5]
	s_delay_alu instid0(VALU_DEP_1) | instskip(NEXT) | instid1(VALU_DEP_1)
	v_fmac_f64_e32 v[12:13], v[2:3], v[2:3]
	v_div_scale_f64 v[14:15], null, v[12:13], v[12:13], 1.0
	v_div_scale_f64 v[20:21], vcc_lo, 1.0, v[12:13], 1.0
	s_delay_alu instid0(VALU_DEP_2) | instskip(SKIP_1) | instid1(TRANS32_DEP_1)
	v_rcp_f64_e32 v[16:17], v[14:15]
	v_nop
	v_fma_f64 v[18:19], -v[14:15], v[16:17], 1.0
	s_delay_alu instid0(VALU_DEP_1) | instskip(NEXT) | instid1(VALU_DEP_1)
	v_fmac_f64_e32 v[16:17], v[16:17], v[18:19]
	v_fma_f64 v[18:19], -v[14:15], v[16:17], 1.0
	s_delay_alu instid0(VALU_DEP_1) | instskip(NEXT) | instid1(VALU_DEP_1)
	v_fmac_f64_e32 v[16:17], v[16:17], v[18:19]
	v_mul_f64_e32 v[18:19], v[20:21], v[16:17]
	s_delay_alu instid0(VALU_DEP_1) | instskip(SKIP_3) | instid1(VALU_DEP_3)
	v_fma_f64 v[14:15], -v[14:15], v[18:19], v[20:21]
	s_wait_dscnt 0x0
	v_mul_f64_e32 v[20:21], v[4:5], v[8:9]
	v_mul_f64_e64 v[4:5], v[4:5], -v[6:7]
	v_div_fmas_f64 v[14:15], v[14:15], v[16:17], v[18:19]
	s_delay_alu instid0(VALU_DEP_3) | instskip(NEXT) | instid1(VALU_DEP_3)
	v_fmac_f64_e32 v[20:21], v[6:7], v[2:3]
	v_fmac_f64_e32 v[4:5], v[8:9], v[2:3]
	s_delay_alu instid0(VALU_DEP_3) | instskip(NEXT) | instid1(VALU_DEP_1)
	v_div_fixup_f64 v[6:7], v[14:15], v[12:13], 1.0
                                        ; implicit-def: $vgpr13
                                        ; implicit-def: $vgpr14
                                        ; implicit-def: $vgpr12
	v_mul_f64_e32 v[2:3], v[6:7], v[20:21]
	s_delay_alu instid0(VALU_DEP_3)
	v_mul_f64_e32 v[4:5], v[6:7], v[4:5]
                                        ; implicit-def: $vgpr6
.LBB78_13:
	s_and_not1_saveexec_b32 s1, s1
	s_cbranch_execz .LBB78_15
; %bb.14:
	ds_load_b128 v[2:5], v13
	ds_load_b128 v[16:19], v13 offset:2048
	ds_load_b128 v[20:23], v14 offset:2048
	ds_load_b128 v[24:27], v12
	s_wait_dscnt 0x2
	v_mul_f64_e32 v[8:9], v[4:5], v[16:17]
	v_mul_f64_e64 v[28:29], v[4:5], -v[18:19]
	s_wait_dscnt 0x0
	v_mul_f64_e32 v[12:13], v[22:23], v[24:25]
	v_mul_f64_e64 v[30:31], v[22:23], -v[26:27]
	s_delay_alu instid0(VALU_DEP_4) | instskip(NEXT) | instid1(VALU_DEP_4)
	v_fmac_f64_e32 v[8:9], v[18:19], v[2:3]
	v_fmac_f64_e32 v[28:29], v[16:17], v[2:3]
	s_delay_alu instid0(VALU_DEP_4) | instskip(NEXT) | instid1(VALU_DEP_4)
	v_fmac_f64_e32 v[12:13], v[26:27], v[20:21]
	v_fmac_f64_e32 v[30:31], v[24:25], v[20:21]
	s_delay_alu instid0(VALU_DEP_2) | instskip(NEXT) | instid1(VALU_DEP_2)
	v_add_f64_e64 v[12:13], v[8:9], -v[12:13]
	v_add_f64_e64 v[32:33], v[28:29], -v[30:31]
	s_delay_alu instid0(VALU_DEP_2) | instskip(NEXT) | instid1(VALU_DEP_1)
	v_mul_f64_e32 v[34:35], v[12:13], v[12:13]
	v_fmac_f64_e32 v[34:35], v[32:33], v[32:33]
	s_delay_alu instid0(VALU_DEP_1) | instskip(SKIP_1) | instid1(VALU_DEP_2)
	v_div_scale_f64 v[8:9], null, v[34:35], v[34:35], 1.0
	v_div_scale_f64 v[30:31], vcc_lo, 1.0, v[34:35], 1.0
	v_rcp_f64_e32 v[36:37], v[8:9]
	v_nop
	s_delay_alu instid0(TRANS32_DEP_1) | instskip(NEXT) | instid1(VALU_DEP_1)
	v_fma_f64 v[28:29], -v[8:9], v[36:37], 1.0
	v_fmac_f64_e32 v[36:37], v[36:37], v[28:29]
	s_delay_alu instid0(VALU_DEP_1) | instskip(NEXT) | instid1(VALU_DEP_1)
	v_fma_f64 v[28:29], -v[8:9], v[36:37], 1.0
	v_fmac_f64_e32 v[36:37], v[36:37], v[28:29]
	s_delay_alu instid0(VALU_DEP_1) | instskip(NEXT) | instid1(VALU_DEP_1)
	v_mul_f64_e32 v[38:39], v[30:31], v[36:37]
	v_fma_f64 v[40:41], -v[8:9], v[38:39], v[30:31]
	ds_load_b128 v[28:31], v10
	ds_load_b128 v[8:11], v10 offset:2048
	s_wait_dscnt 0x1
	v_mul_f64_e64 v[42:43], v[30:31], -v[18:19]
	v_mul_f64_e32 v[44:45], v[16:17], v[30:31]
	s_wait_dscnt 0x0
	v_mul_f64_e64 v[46:47], v[10:11], -v[26:27]
	v_mul_f64_e32 v[48:49], v[24:25], v[10:11]
	v_mul_f64_e64 v[50:51], v[4:5], -v[10:11]
	v_mul_f64_e32 v[4:5], v[4:5], v[8:9]
	v_div_fmas_f64 v[36:37], v[40:41], v[36:37], v[38:39]
	v_mul_f64_e32 v[38:39], v[22:23], v[28:29]
	v_mul_f64_e64 v[22:23], v[22:23], -v[30:31]
	v_fmac_f64_e32 v[42:43], v[16:17], v[28:29]
	v_fmac_f64_e32 v[44:45], v[18:19], v[28:29]
	;; [unrolled: 1-line block ×5, first 2 shown]
	v_fma_f64 v[8:9], v[32:33], 0, -v[12:13]
	v_fmac_f64_e32 v[4:5], v[10:11], v[2:3]
	v_fma_f64 v[2:3], 0, v[12:13], v[32:33]
	v_div_fixup_f64 v[16:17], v[36:37], v[34:35], 1.0
	v_fmac_f64_e32 v[38:39], v[30:31], v[20:21]
	v_fmac_f64_e32 v[22:23], v[28:29], v[20:21]
	v_add_f64_e64 v[12:13], v[42:43], -v[46:47]
	v_add_f64_e64 v[10:11], v[44:45], -v[48:49]
	v_mul_f64_e32 v[8:9], v[8:9], v[16:17]
	v_add_f64_e64 v[20:21], v[4:5], -v[38:39]
	v_add_f64_e64 v[22:23], v[50:51], -v[22:23]
	v_mul_f64_e32 v[24:25], v[2:3], v[16:17]
	s_delay_alu instid0(VALU_DEP_4) | instskip(SKIP_3) | instid1(VALU_DEP_4)
	v_mul_f64_e64 v[16:17], v[8:9], -v[10:11]
	v_mul_f64_e32 v[18:19], v[8:9], v[12:13]
	v_mul_f64_e64 v[2:3], v[8:9], -v[20:21]
	v_mul_f64_e32 v[4:5], v[8:9], v[22:23]
	v_fmac_f64_e32 v[16:17], v[12:13], v[24:25]
	s_delay_alu instid0(VALU_DEP_4) | instskip(NEXT) | instid1(VALU_DEP_4)
	v_fmac_f64_e32 v[18:19], v[10:11], v[24:25]
	v_fmac_f64_e32 v[2:3], v[22:23], v[24:25]
	s_delay_alu instid0(VALU_DEP_4)
	v_fmac_f64_e32 v[4:5], v[20:21], v[24:25]
	v_mov_b32_e32 v11, v6
	ds_store_b128 v14, v[16:19] offset:12288
.LBB78_15:
	s_or_b32 exec_lo, exec_lo, s1
	v_lshlrev_b32_e32 v6, 4, v11
	ds_store_b128 v6, v[2:5] offset:12288
.LBB78_16:
	s_or_b32 exec_lo, exec_lo, s0
	s_wait_dscnt 0x0
	s_barrier_signal -1
	s_barrier_wait -1
	s_and_saveexec_b32 s0, s2
	s_cbranch_execz .LBB78_18
; %bb.17:
	v_lshl_or_b32 v0, v0, 4, 0x3000
	ds_load_2addr_b64 v[2:5], v0 offset1:1
	s_wait_dscnt 0x0
	s_wait_kmcnt 0x0
	global_store_b128 v1, v[2:5], s[4:5] scale_offset
.LBB78_18:
	s_endpgm
	.section	.rodata,"a",@progbits
	.p2align	6, 0x0
	.amdhsa_kernel _ZN9rocsparseL44gtsv_nopivot_strided_batch_pcr_shared_kernelILj256E21rocsparse_complex_numIdEEEviiiPKT0_S5_S5_PS3_
		.amdhsa_group_segment_fixed_size 20480
		.amdhsa_private_segment_fixed_size 0
		.amdhsa_kernarg_size 48
		.amdhsa_user_sgpr_count 2
		.amdhsa_user_sgpr_dispatch_ptr 0
		.amdhsa_user_sgpr_queue_ptr 0
		.amdhsa_user_sgpr_kernarg_segment_ptr 1
		.amdhsa_user_sgpr_dispatch_id 0
		.amdhsa_user_sgpr_kernarg_preload_length 0
		.amdhsa_user_sgpr_kernarg_preload_offset 0
		.amdhsa_user_sgpr_private_segment_size 0
		.amdhsa_wavefront_size32 1
		.amdhsa_uses_dynamic_stack 0
		.amdhsa_enable_private_segment 0
		.amdhsa_system_sgpr_workgroup_id_x 1
		.amdhsa_system_sgpr_workgroup_id_y 0
		.amdhsa_system_sgpr_workgroup_id_z 0
		.amdhsa_system_sgpr_workgroup_info 0
		.amdhsa_system_vgpr_workitem_id 0
		.amdhsa_next_free_vgpr 64
		.amdhsa_next_free_sgpr 8
		.amdhsa_named_barrier_count 0
		.amdhsa_reserve_vcc 1
		.amdhsa_float_round_mode_32 0
		.amdhsa_float_round_mode_16_64 0
		.amdhsa_float_denorm_mode_32 3
		.amdhsa_float_denorm_mode_16_64 3
		.amdhsa_fp16_overflow 0
		.amdhsa_memory_ordered 1
		.amdhsa_forward_progress 1
		.amdhsa_inst_pref_size 14
		.amdhsa_round_robin_scheduling 0
		.amdhsa_exception_fp_ieee_invalid_op 0
		.amdhsa_exception_fp_denorm_src 0
		.amdhsa_exception_fp_ieee_div_zero 0
		.amdhsa_exception_fp_ieee_overflow 0
		.amdhsa_exception_fp_ieee_underflow 0
		.amdhsa_exception_fp_ieee_inexact 0
		.amdhsa_exception_int_div_zero 0
	.end_amdhsa_kernel
	.section	.text._ZN9rocsparseL44gtsv_nopivot_strided_batch_pcr_shared_kernelILj256E21rocsparse_complex_numIdEEEviiiPKT0_S5_S5_PS3_,"axG",@progbits,_ZN9rocsparseL44gtsv_nopivot_strided_batch_pcr_shared_kernelILj256E21rocsparse_complex_numIdEEEviiiPKT0_S5_S5_PS3_,comdat
.Lfunc_end78:
	.size	_ZN9rocsparseL44gtsv_nopivot_strided_batch_pcr_shared_kernelILj256E21rocsparse_complex_numIdEEEviiiPKT0_S5_S5_PS3_, .Lfunc_end78-_ZN9rocsparseL44gtsv_nopivot_strided_batch_pcr_shared_kernelILj256E21rocsparse_complex_numIdEEEviiiPKT0_S5_S5_PS3_
                                        ; -- End function
	.set _ZN9rocsparseL44gtsv_nopivot_strided_batch_pcr_shared_kernelILj256E21rocsparse_complex_numIdEEEviiiPKT0_S5_S5_PS3_.num_vgpr, 64
	.set _ZN9rocsparseL44gtsv_nopivot_strided_batch_pcr_shared_kernelILj256E21rocsparse_complex_numIdEEEviiiPKT0_S5_S5_PS3_.num_agpr, 0
	.set _ZN9rocsparseL44gtsv_nopivot_strided_batch_pcr_shared_kernelILj256E21rocsparse_complex_numIdEEEviiiPKT0_S5_S5_PS3_.numbered_sgpr, 8
	.set _ZN9rocsparseL44gtsv_nopivot_strided_batch_pcr_shared_kernelILj256E21rocsparse_complex_numIdEEEviiiPKT0_S5_S5_PS3_.num_named_barrier, 0
	.set _ZN9rocsparseL44gtsv_nopivot_strided_batch_pcr_shared_kernelILj256E21rocsparse_complex_numIdEEEviiiPKT0_S5_S5_PS3_.private_seg_size, 0
	.set _ZN9rocsparseL44gtsv_nopivot_strided_batch_pcr_shared_kernelILj256E21rocsparse_complex_numIdEEEviiiPKT0_S5_S5_PS3_.uses_vcc, 1
	.set _ZN9rocsparseL44gtsv_nopivot_strided_batch_pcr_shared_kernelILj256E21rocsparse_complex_numIdEEEviiiPKT0_S5_S5_PS3_.uses_flat_scratch, 0
	.set _ZN9rocsparseL44gtsv_nopivot_strided_batch_pcr_shared_kernelILj256E21rocsparse_complex_numIdEEEviiiPKT0_S5_S5_PS3_.has_dyn_sized_stack, 0
	.set _ZN9rocsparseL44gtsv_nopivot_strided_batch_pcr_shared_kernelILj256E21rocsparse_complex_numIdEEEviiiPKT0_S5_S5_PS3_.has_recursion, 0
	.set _ZN9rocsparseL44gtsv_nopivot_strided_batch_pcr_shared_kernelILj256E21rocsparse_complex_numIdEEEviiiPKT0_S5_S5_PS3_.has_indirect_call, 0
	.section	.AMDGPU.csdata,"",@progbits
; Kernel info:
; codeLenInByte = 1792
; TotalNumSgprs: 10
; NumVgprs: 64
; ScratchSize: 0
; MemoryBound: 1
; FloatMode: 240
; IeeeMode: 1
; LDSByteSize: 20480 bytes/workgroup (compile time only)
; SGPRBlocks: 0
; VGPRBlocks: 3
; NumSGPRsForWavesPerEU: 10
; NumVGPRsForWavesPerEU: 64
; NamedBarCnt: 0
; Occupancy: 16
; WaveLimiterHint : 0
; COMPUTE_PGM_RSRC2:SCRATCH_EN: 0
; COMPUTE_PGM_RSRC2:USER_SGPR: 2
; COMPUTE_PGM_RSRC2:TRAP_HANDLER: 0
; COMPUTE_PGM_RSRC2:TGID_X_EN: 1
; COMPUTE_PGM_RSRC2:TGID_Y_EN: 0
; COMPUTE_PGM_RSRC2:TGID_Z_EN: 0
; COMPUTE_PGM_RSRC2:TIDIG_COMP_CNT: 0
	.section	.text._ZN9rocsparseL44gtsv_nopivot_strided_batch_pcr_shared_kernelILj512E21rocsparse_complex_numIdEEEviiiPKT0_S5_S5_PS3_,"axG",@progbits,_ZN9rocsparseL44gtsv_nopivot_strided_batch_pcr_shared_kernelILj512E21rocsparse_complex_numIdEEEviiiPKT0_S5_S5_PS3_,comdat
	.globl	_ZN9rocsparseL44gtsv_nopivot_strided_batch_pcr_shared_kernelILj512E21rocsparse_complex_numIdEEEviiiPKT0_S5_S5_PS3_ ; -- Begin function _ZN9rocsparseL44gtsv_nopivot_strided_batch_pcr_shared_kernelILj512E21rocsparse_complex_numIdEEEviiiPKT0_S5_S5_PS3_
	.p2align	8
	.type	_ZN9rocsparseL44gtsv_nopivot_strided_batch_pcr_shared_kernelILj512E21rocsparse_complex_numIdEEEviiiPKT0_S5_S5_PS3_,@function
_ZN9rocsparseL44gtsv_nopivot_strided_batch_pcr_shared_kernelILj512E21rocsparse_complex_numIdEEEviiiPKT0_S5_S5_PS3_: ; @_ZN9rocsparseL44gtsv_nopivot_strided_batch_pcr_shared_kernelILj512E21rocsparse_complex_numIdEEEviiiPKT0_S5_S5_PS3_
; %bb.0:
	s_clause 0x1
	s_load_b32 s2, s[0:1], 0x8
	s_load_b32 s3, s[0:1], 0x0
	s_bfe_u32 s4, ttmp6, 0x4000c
	s_and_b32 s5, ttmp6, 15
	s_add_co_i32 s4, s4, 1
	s_getreg_b32 s6, hwreg(HW_REG_IB_STS2, 6, 4)
	s_mul_i32 s4, ttmp9, s4
	v_mov_b64_e32 v[2:3], 0
	s_add_co_i32 s5, s5, s4
	s_cmp_eq_u32 s6, 0
	v_mov_b64_e32 v[6:7], 0
	s_cselect_b32 s4, ttmp9, s5
	v_mov_b64_e32 v[8:9], 0
	s_wait_kmcnt 0x0
	v_mad_u32 v1, s2, s4, v0
	v_cmp_gt_i32_e64 s2, s3, v0
	s_and_saveexec_b32 s4, s2
	s_cbranch_execz .LBB79_2
; %bb.1:
	s_load_b64 s[6:7], s[0:1], 0x10
	s_wait_kmcnt 0x0
	global_load_b128 v[6:9], v1, s[6:7] scale_offset
.LBB79_2:
	s_wait_xcnt 0x0
	s_or_b32 exec_lo, exec_lo, s4
	v_mov_b64_e32 v[4:5], 0
	v_lshlrev_b32_e32 v14, 4, v0
	s_wait_loadcnt 0x0
	ds_store_b128 v14, v[6:9]
	s_and_saveexec_b32 s4, s2
	s_cbranch_execz .LBB79_4
; %bb.3:
	s_load_b64 s[6:7], s[0:1], 0x18
	s_wait_kmcnt 0x0
	global_load_b128 v[2:5], v1, s[6:7] scale_offset
.LBB79_4:
	s_wait_xcnt 0x0
	s_or_b32 exec_lo, exec_lo, s4
	s_load_b64 s[4:5], s[0:1], 0x28
	v_mov_b64_e32 v[6:7], 0
	v_mov_b64_e32 v[10:11], 0
	;; [unrolled: 1-line block ×3, first 2 shown]
	s_wait_loadcnt 0x0
	ds_store_b128 v14, v[2:5] offset:8192
	s_and_saveexec_b32 s6, s2
	s_cbranch_execz .LBB79_6
; %bb.5:
	s_wait_xcnt 0x0
	s_load_b64 s[0:1], s[0:1], 0x20
	s_wait_kmcnt 0x0
	global_load_b128 v[10:13], v1, s[0:1] scale_offset
.LBB79_6:
	s_wait_xcnt 0x0
	s_or_b32 exec_lo, exec_lo, s6
	v_mov_b64_e32 v[8:9], 0
	s_wait_loadcnt 0x0
	ds_store_b128 v14, v[10:13] offset:16384
	s_and_saveexec_b32 s0, s2
	s_cbranch_execz .LBB79_8
; %bb.7:
	s_wait_kmcnt 0x0
	global_load_b128 v[6:9], v1, s[4:5] scale_offset
.LBB79_8:
	s_wait_xcnt 0x0
	s_or_b32 exec_lo, exec_lo, s0
	v_mov_b32_e32 v11, v0
	v_or_b32_e32 v13, 0x2000, v14
	v_or_b32_e32 v12, 0x4000, v14
	;; [unrolled: 1-line block ×3, first 2 shown]
	s_add_co_i32 s1, s3, -1
	s_mov_b32 s6, 1
	s_mov_b32 s7, 8
	s_wait_loadcnt 0x0
	ds_store_b128 v14, v[6:9] offset:32768
	s_wait_dscnt 0x0
	s_barrier_signal -1
	s_barrier_wait -1
.LBB79_9:                               ; =>This Inner Loop Header: Depth=1
	v_subrev_nc_u32_e32 v2, s6, v0
	v_add_min_i32_e64 v6, s6, v0, s1
	s_add_co_i32 s7, s7, -1
	s_lshl_b32 s6, s6, 1
	s_cmp_eq_u32 s7, 0
	v_max_i32_e32 v2, 0, v2
	s_delay_alu instid0(VALU_DEP_1)
	v_lshlrev_b32_e32 v15, 4, v2
	ds_load_b128 v[2:5], v15 offset:8192
	v_lshlrev_b32_e32 v58, 4, v6
	ds_load_b128 v[6:9], v15 offset:16384
	ds_load_b128 v[16:19], v58 offset:8192
	;; [unrolled: 1-line block ×3, first 2 shown]
	s_wait_dscnt 0x3
	v_mul_f64_e32 v[40:41], v[4:5], v[4:5]
	s_wait_dscnt 0x1
	v_mul_f64_e32 v[42:43], v[18:19], v[18:19]
	s_delay_alu instid0(VALU_DEP_2) | instskip(NEXT) | instid1(VALU_DEP_2)
	v_fmac_f64_e32 v[40:41], v[2:3], v[2:3]
	v_fmac_f64_e32 v[42:43], v[16:17], v[16:17]
	s_delay_alu instid0(VALU_DEP_2) | instskip(NEXT) | instid1(VALU_DEP_2)
	v_div_scale_f64 v[24:25], null, v[40:41], v[40:41], 1.0
	v_div_scale_f64 v[32:33], null, v[42:43], v[42:43], 1.0
	v_div_scale_f64 v[36:37], s0, 1.0, v[42:43], 1.0
	s_delay_alu instid0(VALU_DEP_3) | instskip(NEXT) | instid1(VALU_DEP_2)
	v_rcp_f64_e32 v[34:35], v[24:25]
	v_rcp_f64_e32 v[44:45], v[32:33]
	s_delay_alu instid0(TRANS32_DEP_2) | instskip(NEXT) | instid1(TRANS32_DEP_1)
	v_fma_f64 v[26:27], -v[24:25], v[34:35], 1.0
	v_fma_f64 v[28:29], -v[32:33], v[44:45], 1.0
	s_delay_alu instid0(VALU_DEP_2) | instskip(NEXT) | instid1(VALU_DEP_2)
	v_fmac_f64_e32 v[34:35], v[34:35], v[26:27]
	v_fmac_f64_e32 v[44:45], v[44:45], v[28:29]
	v_div_scale_f64 v[28:29], vcc_lo, 1.0, v[40:41], 1.0
	s_delay_alu instid0(VALU_DEP_3) | instskip(NEXT) | instid1(VALU_DEP_3)
	v_fma_f64 v[26:27], -v[24:25], v[34:35], 1.0
	v_fma_f64 v[30:31], -v[32:33], v[44:45], 1.0
	s_delay_alu instid0(VALU_DEP_2) | instskip(NEXT) | instid1(VALU_DEP_2)
	v_fmac_f64_e32 v[34:35], v[34:35], v[26:27]
	v_fmac_f64_e32 v[44:45], v[44:45], v[30:31]
	s_delay_alu instid0(VALU_DEP_2) | instskip(NEXT) | instid1(VALU_DEP_2)
	v_mul_f64_e32 v[38:39], v[28:29], v[34:35]
	v_mul_f64_e32 v[46:47], v[36:37], v[44:45]
	s_delay_alu instid0(VALU_DEP_2)
	v_fma_f64 v[48:49], -v[24:25], v[38:39], v[28:29]
	ds_load_b128 v[24:27], v14
	ds_load_b128 v[28:31], v13
	v_fma_f64 v[52:53], -v[32:33], v[46:47], v[36:37]
	s_wait_dscnt 0x1
	v_mul_f64_e64 v[50:51], v[4:5], -v[24:25]
	v_mul_f64_e32 v[56:57], v[4:5], v[26:27]
	v_div_fmas_f64 v[48:49], v[48:49], v[34:35], v[38:39]
	ds_load_b128 v[32:35], v12
	ds_load_b128 v[36:39], v10
	s_mov_b32 vcc_lo, s0
	v_div_fmas_f64 v[4:5], v[52:53], v[44:45], v[46:47]
	s_wait_dscnt 0x1
	v_mul_f64_e64 v[54:55], v[18:19], -v[32:33]
	v_fmac_f64_e32 v[50:51], v[26:27], v[2:3]
	v_mul_f64_e32 v[46:47], v[18:19], v[34:35]
	v_fmac_f64_e32 v[56:57], v[24:25], v[2:3]
	v_div_fixup_f64 v[44:45], v[48:49], v[40:41], 1.0
	v_fmac_f64_e32 v[54:55], v[34:35], v[16:17]
	v_div_fixup_f64 v[34:35], v[4:5], v[42:43], 1.0
	ds_load_b128 v[2:5], v15 offset:32768
	ds_load_b128 v[24:27], v58
	ds_load_b128 v[40:43], v15
	v_fmac_f64_e32 v[46:47], v[32:33], v[16:17]
	ds_load_b128 v[16:19], v58 offset:32768
	s_wait_dscnt 0x0
	s_barrier_signal -1
	s_barrier_wait -1
	v_mul_f64_e32 v[48:49], v[44:45], v[50:51]
	v_mul_f64_e32 v[32:33], v[44:45], v[56:57]
	;; [unrolled: 1-line block ×4, first 2 shown]
	s_delay_alu instid0(VALU_DEP_4)
	v_mul_f64_e64 v[50:51], v[48:49], -v[8:9]
	v_mul_f64_e32 v[52:53], v[48:49], v[6:7]
	v_mul_f64_e64 v[54:55], v[48:49], -v[4:5]
	v_mul_f64_e32 v[56:57], v[48:49], v[2:3]
	;; [unrolled: 2-line block ×4, first 2 shown]
	v_fmac_f64_e32 v[50:51], v[6:7], v[32:33]
	v_fmac_f64_e32 v[52:53], v[8:9], v[32:33]
	;; [unrolled: 1-line block ×4, first 2 shown]
	v_mul_f64_e32 v[2:3], v[48:49], v[42:43]
	v_mul_f64_e64 v[4:5], v[48:49], -v[40:41]
	v_mul_f64_e32 v[6:7], v[44:45], v[22:23]
	v_mul_f64_e64 v[8:9], v[44:45], -v[20:21]
	v_fmac_f64_e32 v[46:47], v[24:25], v[34:35]
	v_fmac_f64_e32 v[58:59], v[26:27], v[34:35]
	;; [unrolled: 1-line block ×4, first 2 shown]
	v_add_f64_e64 v[16:17], v[28:29], -v[50:51]
	v_add_f64_e64 v[18:19], v[30:31], -v[52:53]
	;; [unrolled: 1-line block ×4, first 2 shown]
	v_fma_f64 v[2:3], -v[40:41], v[32:33], v[2:3]
	v_fma_f64 v[4:5], -v[42:43], v[32:33], v[4:5]
	v_fma_f64 v[6:7], -v[20:21], v[34:35], v[6:7]
	v_fma_f64 v[8:9], -v[22:23], v[34:35], v[8:9]
	v_add_f64_e64 v[16:17], v[16:17], -v[46:47]
	v_add_f64_e64 v[18:19], v[18:19], -v[58:59]
	;; [unrolled: 1-line block ×4, first 2 shown]
	ds_store_b128 v13, v[16:19]
	ds_store_b128 v14, v[2:5]
	ds_store_b128 v10, v[20:23]
	ds_store_b128 v12, v[6:9]
	s_wait_dscnt 0x0
	s_barrier_signal -1
	s_barrier_wait -1
	s_cbranch_scc0 .LBB79_9
; %bb.10:
	s_mov_b32 s0, exec_lo
	v_cmpx_gt_u32_e32 0x100, v0
	s_cbranch_execz .LBB79_16
; %bb.11:
	v_or_b32_e32 v6, 0x100, v0
	s_mov_b32 s1, exec_lo
                                        ; implicit-def: $vgpr4_vgpr5
	s_delay_alu instid0(VALU_DEP_1)
	v_cmpx_le_i32_e64 s3, v6
	s_xor_b32 s1, exec_lo, s1
	s_cbranch_execz .LBB79_13
; %bb.12:
	ds_load_b128 v[2:5], v13
	ds_load_b128 v[6:9], v10
                                        ; implicit-def: $vgpr10
	s_wait_dscnt 0x1
	v_mul_f64_e32 v[12:13], v[4:5], v[4:5]
	s_delay_alu instid0(VALU_DEP_1) | instskip(NEXT) | instid1(VALU_DEP_1)
	v_fmac_f64_e32 v[12:13], v[2:3], v[2:3]
	v_div_scale_f64 v[14:15], null, v[12:13], v[12:13], 1.0
	v_div_scale_f64 v[20:21], vcc_lo, 1.0, v[12:13], 1.0
	s_delay_alu instid0(VALU_DEP_2) | instskip(SKIP_1) | instid1(TRANS32_DEP_1)
	v_rcp_f64_e32 v[16:17], v[14:15]
	v_nop
	v_fma_f64 v[18:19], -v[14:15], v[16:17], 1.0
	s_delay_alu instid0(VALU_DEP_1) | instskip(NEXT) | instid1(VALU_DEP_1)
	v_fmac_f64_e32 v[16:17], v[16:17], v[18:19]
	v_fma_f64 v[18:19], -v[14:15], v[16:17], 1.0
	s_delay_alu instid0(VALU_DEP_1) | instskip(NEXT) | instid1(VALU_DEP_1)
	v_fmac_f64_e32 v[16:17], v[16:17], v[18:19]
	v_mul_f64_e32 v[18:19], v[20:21], v[16:17]
	s_delay_alu instid0(VALU_DEP_1) | instskip(SKIP_3) | instid1(VALU_DEP_3)
	v_fma_f64 v[14:15], -v[14:15], v[18:19], v[20:21]
	s_wait_dscnt 0x0
	v_mul_f64_e32 v[20:21], v[4:5], v[8:9]
	v_mul_f64_e64 v[4:5], v[4:5], -v[6:7]
	v_div_fmas_f64 v[14:15], v[14:15], v[16:17], v[18:19]
	s_delay_alu instid0(VALU_DEP_3) | instskip(NEXT) | instid1(VALU_DEP_3)
	v_fmac_f64_e32 v[20:21], v[6:7], v[2:3]
	v_fmac_f64_e32 v[4:5], v[8:9], v[2:3]
	s_delay_alu instid0(VALU_DEP_3) | instskip(NEXT) | instid1(VALU_DEP_1)
	v_div_fixup_f64 v[6:7], v[14:15], v[12:13], 1.0
                                        ; implicit-def: $vgpr13
                                        ; implicit-def: $vgpr14
                                        ; implicit-def: $vgpr12
	v_mul_f64_e32 v[2:3], v[6:7], v[20:21]
	s_delay_alu instid0(VALU_DEP_3)
	v_mul_f64_e32 v[4:5], v[6:7], v[4:5]
                                        ; implicit-def: $vgpr6
.LBB79_13:
	s_and_not1_saveexec_b32 s1, s1
	s_cbranch_execz .LBB79_15
; %bb.14:
	ds_load_b128 v[2:5], v13
	ds_load_b128 v[16:19], v13 offset:4096
	ds_load_b128 v[20:23], v14 offset:4096
	ds_load_b128 v[24:27], v12
	s_wait_dscnt 0x2
	v_mul_f64_e32 v[8:9], v[4:5], v[16:17]
	v_mul_f64_e64 v[28:29], v[4:5], -v[18:19]
	s_wait_dscnt 0x0
	v_mul_f64_e32 v[12:13], v[22:23], v[24:25]
	v_mul_f64_e64 v[30:31], v[22:23], -v[26:27]
	s_delay_alu instid0(VALU_DEP_4) | instskip(NEXT) | instid1(VALU_DEP_4)
	v_fmac_f64_e32 v[8:9], v[18:19], v[2:3]
	v_fmac_f64_e32 v[28:29], v[16:17], v[2:3]
	s_delay_alu instid0(VALU_DEP_4) | instskip(NEXT) | instid1(VALU_DEP_4)
	v_fmac_f64_e32 v[12:13], v[26:27], v[20:21]
	v_fmac_f64_e32 v[30:31], v[24:25], v[20:21]
	s_delay_alu instid0(VALU_DEP_2) | instskip(NEXT) | instid1(VALU_DEP_2)
	v_add_f64_e64 v[12:13], v[8:9], -v[12:13]
	v_add_f64_e64 v[32:33], v[28:29], -v[30:31]
	s_delay_alu instid0(VALU_DEP_2) | instskip(NEXT) | instid1(VALU_DEP_1)
	v_mul_f64_e32 v[34:35], v[12:13], v[12:13]
	v_fmac_f64_e32 v[34:35], v[32:33], v[32:33]
	s_delay_alu instid0(VALU_DEP_1) | instskip(SKIP_1) | instid1(VALU_DEP_2)
	v_div_scale_f64 v[8:9], null, v[34:35], v[34:35], 1.0
	v_div_scale_f64 v[30:31], vcc_lo, 1.0, v[34:35], 1.0
	v_rcp_f64_e32 v[36:37], v[8:9]
	v_nop
	s_delay_alu instid0(TRANS32_DEP_1) | instskip(NEXT) | instid1(VALU_DEP_1)
	v_fma_f64 v[28:29], -v[8:9], v[36:37], 1.0
	v_fmac_f64_e32 v[36:37], v[36:37], v[28:29]
	s_delay_alu instid0(VALU_DEP_1) | instskip(NEXT) | instid1(VALU_DEP_1)
	v_fma_f64 v[28:29], -v[8:9], v[36:37], 1.0
	v_fmac_f64_e32 v[36:37], v[36:37], v[28:29]
	s_delay_alu instid0(VALU_DEP_1) | instskip(NEXT) | instid1(VALU_DEP_1)
	v_mul_f64_e32 v[38:39], v[30:31], v[36:37]
	v_fma_f64 v[40:41], -v[8:9], v[38:39], v[30:31]
	ds_load_b128 v[28:31], v10
	ds_load_b128 v[8:11], v10 offset:4096
	s_wait_dscnt 0x1
	v_mul_f64_e64 v[42:43], v[30:31], -v[18:19]
	v_mul_f64_e32 v[44:45], v[16:17], v[30:31]
	s_wait_dscnt 0x0
	v_mul_f64_e64 v[46:47], v[10:11], -v[26:27]
	v_mul_f64_e32 v[48:49], v[24:25], v[10:11]
	v_mul_f64_e64 v[50:51], v[4:5], -v[10:11]
	v_mul_f64_e32 v[4:5], v[4:5], v[8:9]
	v_div_fmas_f64 v[36:37], v[40:41], v[36:37], v[38:39]
	v_mul_f64_e32 v[38:39], v[22:23], v[28:29]
	v_mul_f64_e64 v[22:23], v[22:23], -v[30:31]
	v_fmac_f64_e32 v[42:43], v[16:17], v[28:29]
	v_fmac_f64_e32 v[44:45], v[18:19], v[28:29]
	;; [unrolled: 1-line block ×5, first 2 shown]
	v_fma_f64 v[8:9], v[32:33], 0, -v[12:13]
	v_fmac_f64_e32 v[4:5], v[10:11], v[2:3]
	v_fma_f64 v[2:3], 0, v[12:13], v[32:33]
	v_div_fixup_f64 v[16:17], v[36:37], v[34:35], 1.0
	v_fmac_f64_e32 v[38:39], v[30:31], v[20:21]
	v_fmac_f64_e32 v[22:23], v[28:29], v[20:21]
	v_add_f64_e64 v[12:13], v[42:43], -v[46:47]
	v_add_f64_e64 v[10:11], v[44:45], -v[48:49]
	v_mul_f64_e32 v[8:9], v[8:9], v[16:17]
	v_add_f64_e64 v[20:21], v[4:5], -v[38:39]
	v_add_f64_e64 v[22:23], v[50:51], -v[22:23]
	v_mul_f64_e32 v[24:25], v[2:3], v[16:17]
	s_delay_alu instid0(VALU_DEP_4) | instskip(SKIP_3) | instid1(VALU_DEP_4)
	v_mul_f64_e64 v[16:17], v[8:9], -v[10:11]
	v_mul_f64_e32 v[18:19], v[8:9], v[12:13]
	v_mul_f64_e64 v[2:3], v[8:9], -v[20:21]
	v_mul_f64_e32 v[4:5], v[8:9], v[22:23]
	v_fmac_f64_e32 v[16:17], v[12:13], v[24:25]
	s_delay_alu instid0(VALU_DEP_4) | instskip(NEXT) | instid1(VALU_DEP_4)
	v_fmac_f64_e32 v[18:19], v[10:11], v[24:25]
	v_fmac_f64_e32 v[2:3], v[22:23], v[24:25]
	s_delay_alu instid0(VALU_DEP_4)
	v_fmac_f64_e32 v[4:5], v[20:21], v[24:25]
	v_mov_b32_e32 v11, v6
	ds_store_b128 v14, v[16:19] offset:24576
.LBB79_15:
	s_or_b32 exec_lo, exec_lo, s1
	v_lshlrev_b32_e32 v6, 4, v11
	ds_store_b128 v6, v[2:5] offset:24576
.LBB79_16:
	s_or_b32 exec_lo, exec_lo, s0
	s_wait_dscnt 0x0
	s_barrier_signal -1
	s_barrier_wait -1
	s_and_saveexec_b32 s0, s2
	s_cbranch_execz .LBB79_18
; %bb.17:
	v_lshl_or_b32 v0, v0, 4, 0x6000
	ds_load_2addr_b64 v[2:5], v0 offset1:1
	s_wait_dscnt 0x0
	s_wait_kmcnt 0x0
	global_store_b128 v1, v[2:5], s[4:5] scale_offset
.LBB79_18:
	s_endpgm
	.section	.rodata,"a",@progbits
	.p2align	6, 0x0
	.amdhsa_kernel _ZN9rocsparseL44gtsv_nopivot_strided_batch_pcr_shared_kernelILj512E21rocsparse_complex_numIdEEEviiiPKT0_S5_S5_PS3_
		.amdhsa_group_segment_fixed_size 40960
		.amdhsa_private_segment_fixed_size 0
		.amdhsa_kernarg_size 48
		.amdhsa_user_sgpr_count 2
		.amdhsa_user_sgpr_dispatch_ptr 0
		.amdhsa_user_sgpr_queue_ptr 0
		.amdhsa_user_sgpr_kernarg_segment_ptr 1
		.amdhsa_user_sgpr_dispatch_id 0
		.amdhsa_user_sgpr_kernarg_preload_length 0
		.amdhsa_user_sgpr_kernarg_preload_offset 0
		.amdhsa_user_sgpr_private_segment_size 0
		.amdhsa_wavefront_size32 1
		.amdhsa_uses_dynamic_stack 0
		.amdhsa_enable_private_segment 0
		.amdhsa_system_sgpr_workgroup_id_x 1
		.amdhsa_system_sgpr_workgroup_id_y 0
		.amdhsa_system_sgpr_workgroup_id_z 0
		.amdhsa_system_sgpr_workgroup_info 0
		.amdhsa_system_vgpr_workitem_id 0
		.amdhsa_next_free_vgpr 64
		.amdhsa_next_free_sgpr 8
		.amdhsa_named_barrier_count 0
		.amdhsa_reserve_vcc 1
		.amdhsa_float_round_mode_32 0
		.amdhsa_float_round_mode_16_64 0
		.amdhsa_float_denorm_mode_32 3
		.amdhsa_float_denorm_mode_16_64 3
		.amdhsa_fp16_overflow 0
		.amdhsa_memory_ordered 1
		.amdhsa_forward_progress 1
		.amdhsa_inst_pref_size 14
		.amdhsa_round_robin_scheduling 0
		.amdhsa_exception_fp_ieee_invalid_op 0
		.amdhsa_exception_fp_denorm_src 0
		.amdhsa_exception_fp_ieee_div_zero 0
		.amdhsa_exception_fp_ieee_overflow 0
		.amdhsa_exception_fp_ieee_underflow 0
		.amdhsa_exception_fp_ieee_inexact 0
		.amdhsa_exception_int_div_zero 0
	.end_amdhsa_kernel
	.section	.text._ZN9rocsparseL44gtsv_nopivot_strided_batch_pcr_shared_kernelILj512E21rocsparse_complex_numIdEEEviiiPKT0_S5_S5_PS3_,"axG",@progbits,_ZN9rocsparseL44gtsv_nopivot_strided_batch_pcr_shared_kernelILj512E21rocsparse_complex_numIdEEEviiiPKT0_S5_S5_PS3_,comdat
.Lfunc_end79:
	.size	_ZN9rocsparseL44gtsv_nopivot_strided_batch_pcr_shared_kernelILj512E21rocsparse_complex_numIdEEEviiiPKT0_S5_S5_PS3_, .Lfunc_end79-_ZN9rocsparseL44gtsv_nopivot_strided_batch_pcr_shared_kernelILj512E21rocsparse_complex_numIdEEEviiiPKT0_S5_S5_PS3_
                                        ; -- End function
	.set _ZN9rocsparseL44gtsv_nopivot_strided_batch_pcr_shared_kernelILj512E21rocsparse_complex_numIdEEEviiiPKT0_S5_S5_PS3_.num_vgpr, 64
	.set _ZN9rocsparseL44gtsv_nopivot_strided_batch_pcr_shared_kernelILj512E21rocsparse_complex_numIdEEEviiiPKT0_S5_S5_PS3_.num_agpr, 0
	.set _ZN9rocsparseL44gtsv_nopivot_strided_batch_pcr_shared_kernelILj512E21rocsparse_complex_numIdEEEviiiPKT0_S5_S5_PS3_.numbered_sgpr, 8
	.set _ZN9rocsparseL44gtsv_nopivot_strided_batch_pcr_shared_kernelILj512E21rocsparse_complex_numIdEEEviiiPKT0_S5_S5_PS3_.num_named_barrier, 0
	.set _ZN9rocsparseL44gtsv_nopivot_strided_batch_pcr_shared_kernelILj512E21rocsparse_complex_numIdEEEviiiPKT0_S5_S5_PS3_.private_seg_size, 0
	.set _ZN9rocsparseL44gtsv_nopivot_strided_batch_pcr_shared_kernelILj512E21rocsparse_complex_numIdEEEviiiPKT0_S5_S5_PS3_.uses_vcc, 1
	.set _ZN9rocsparseL44gtsv_nopivot_strided_batch_pcr_shared_kernelILj512E21rocsparse_complex_numIdEEEviiiPKT0_S5_S5_PS3_.uses_flat_scratch, 0
	.set _ZN9rocsparseL44gtsv_nopivot_strided_batch_pcr_shared_kernelILj512E21rocsparse_complex_numIdEEEviiiPKT0_S5_S5_PS3_.has_dyn_sized_stack, 0
	.set _ZN9rocsparseL44gtsv_nopivot_strided_batch_pcr_shared_kernelILj512E21rocsparse_complex_numIdEEEviiiPKT0_S5_S5_PS3_.has_recursion, 0
	.set _ZN9rocsparseL44gtsv_nopivot_strided_batch_pcr_shared_kernelILj512E21rocsparse_complex_numIdEEEviiiPKT0_S5_S5_PS3_.has_indirect_call, 0
	.section	.AMDGPU.csdata,"",@progbits
; Kernel info:
; codeLenInByte = 1792
; TotalNumSgprs: 10
; NumVgprs: 64
; ScratchSize: 0
; MemoryBound: 1
; FloatMode: 240
; IeeeMode: 1
; LDSByteSize: 40960 bytes/workgroup (compile time only)
; SGPRBlocks: 0
; VGPRBlocks: 3
; NumSGPRsForWavesPerEU: 10
; NumVGPRsForWavesPerEU: 64
; NamedBarCnt: 0
; Occupancy: 16
; WaveLimiterHint : 0
; COMPUTE_PGM_RSRC2:SCRATCH_EN: 0
; COMPUTE_PGM_RSRC2:USER_SGPR: 2
; COMPUTE_PGM_RSRC2:TRAP_HANDLER: 0
; COMPUTE_PGM_RSRC2:TGID_X_EN: 1
; COMPUTE_PGM_RSRC2:TGID_Y_EN: 0
; COMPUTE_PGM_RSRC2:TGID_Z_EN: 0
; COMPUTE_PGM_RSRC2:TIDIG_COMP_CNT: 0
	.section	.text._ZN9rocsparseL49gtsv_nopivot_strided_batch_pcr_pow2_stage1_kernelILj256E21rocsparse_complex_numIdEEEviiiiPKT0_S5_S5_S5_PS3_S6_S6_S6_,"axG",@progbits,_ZN9rocsparseL49gtsv_nopivot_strided_batch_pcr_pow2_stage1_kernelILj256E21rocsparse_complex_numIdEEEviiiiPKT0_S5_S5_S5_PS3_S6_S6_S6_,comdat
	.globl	_ZN9rocsparseL49gtsv_nopivot_strided_batch_pcr_pow2_stage1_kernelILj256E21rocsparse_complex_numIdEEEviiiiPKT0_S5_S5_S5_PS3_S6_S6_S6_ ; -- Begin function _ZN9rocsparseL49gtsv_nopivot_strided_batch_pcr_pow2_stage1_kernelILj256E21rocsparse_complex_numIdEEEviiiiPKT0_S5_S5_S5_PS3_S6_S6_S6_
	.p2align	8
	.type	_ZN9rocsparseL49gtsv_nopivot_strided_batch_pcr_pow2_stage1_kernelILj256E21rocsparse_complex_numIdEEEviiiiPKT0_S5_S5_S5_PS3_S6_S6_S6_,@function
_ZN9rocsparseL49gtsv_nopivot_strided_batch_pcr_pow2_stage1_kernelILj256E21rocsparse_complex_numIdEEEviiiiPKT0_S5_S5_S5_PS3_S6_S6_S6_: ; @_ZN9rocsparseL49gtsv_nopivot_strided_batch_pcr_pow2_stage1_kernelILj256E21rocsparse_complex_numIdEEEviiiiPKT0_S5_S5_S5_PS3_S6_S6_S6_
; %bb.0:
	s_clause 0x2
	s_load_b64 s[2:3], s[0:1], 0x0
	s_load_b32 s17, s[0:1], 0xc
	s_load_b256 s[4:11], s[0:1], 0x10
	s_bfe_u32 s13, ttmp6, 0x4000c
	s_bfe_u32 s14, ttmp6, 0x40010
	s_add_co_i32 s13, s13, 1
	s_add_co_i32 s14, s14, 1
	s_and_b32 s12, ttmp6, 15
	s_bfe_u32 s15, ttmp6, 0x40004
	s_mul_i32 s13, ttmp9, s13
	s_mul_i32 s14, ttmp7, s14
	s_getreg_b32 s16, hwreg(HW_REG_IB_STS2, 6, 4)
	s_add_co_i32 s12, s12, s13
	s_add_co_i32 s15, s15, s14
	s_wait_kmcnt 0x0
	s_add_co_i32 s18, s3, -1
	s_cmp_eq_u32 s16, 0
	s_cselect_b32 s12, ttmp9, s12
	s_cselect_b32 s14, ttmp7, s15
	v_lshl_or_b32 v60, s12, 8, v0
	s_mul_i32 s12, s17, s14
	s_delay_alu instid0(SALU_CYCLE_1) | instskip(NEXT) | instid1(SALU_CYCLE_1)
	s_ashr_i32 s13, s12, 31
	s_lshl_b64 s[12:13], s[12:13], 4
	s_delay_alu instid0(VALU_DEP_1) | instskip(SKIP_3) | instid1(VALU_DEP_2)
	v_subrev_nc_u32_e32 v0, s2, v60
	s_add_nc_u64 s[6:7], s[6:7], s[12:13]
	v_add_min_i32_e64 v61, v60, s2, s18
	s_add_nc_u64 s[4:5], s[4:5], s[12:13]
	v_max_i32_e32 v58, 0, v0
	s_clause 0x1
	global_load_b128 v[4:7], v61, s[6:7] scale_offset
	global_load_b128 v[0:3], v58, s[6:7] scale_offset
	s_wait_loadcnt 0x1
	v_mul_f64_e32 v[46:47], v[6:7], v[6:7]
	s_wait_loadcnt 0x0
	v_mul_f64_e32 v[40:41], v[2:3], v[2:3]
	s_clause 0x2
	global_load_b128 v[8:11], v60, s[4:5] scale_offset
	global_load_b128 v[12:15], v58, s[4:5] scale_offset
	;; [unrolled: 1-line block ×3, first 2 shown]
	s_wait_xcnt 0x0
	s_add_nc_u64 s[4:5], s[8:9], s[12:13]
	s_add_nc_u64 s[8:9], s[10:11], s[12:13]
	global_load_b128 v[20:23], v60, s[4:5] scale_offset
	v_fmac_f64_e32 v[46:47], v[4:5], v[4:5]
	v_fmac_f64_e32 v[40:41], v[0:1], v[0:1]
	s_delay_alu instid0(VALU_DEP_2) | instskip(NEXT) | instid1(VALU_DEP_2)
	v_div_scale_f64 v[48:49], null, v[46:47], v[46:47], 1.0
	v_div_scale_f64 v[42:43], null, v[40:41], v[40:41], 1.0
	v_div_scale_f64 v[56:57], vcc_lo, 1.0, v[40:41], 1.0
	s_delay_alu instid0(VALU_DEP_3) | instskip(NEXT) | instid1(VALU_DEP_2)
	v_rcp_f64_e32 v[50:51], v[48:49]
	v_rcp_f64_e32 v[44:45], v[42:43]
	v_nop
	s_delay_alu instid0(TRANS32_DEP_1) | instskip(NEXT) | instid1(VALU_DEP_1)
	v_fma_f64 v[24:25], -v[42:43], v[44:45], 1.0
	v_fmac_f64_e32 v[44:45], v[44:45], v[24:25]
	global_load_b128 v[24:27], v60, s[6:7] scale_offset
	global_load_b128 v[28:31], v58, s[4:5] scale_offset
	v_fma_f64 v[32:33], -v[42:43], v[44:45], 1.0
	s_delay_alu instid0(VALU_DEP_1)
	v_fmac_f64_e32 v[44:45], v[44:45], v[32:33]
	s_clause 0x1
	global_load_b128 v[32:35], v58, s[8:9] scale_offset
	global_load_b128 v[36:39], v61, s[8:9] scale_offset
	s_wait_xcnt 0x1
	v_mul_f64_e32 v[58:59], v[56:57], v[44:45]
	s_delay_alu instid0(VALU_DEP_1) | instskip(SKIP_3) | instid1(VALU_DEP_3)
	v_fma_f64 v[42:43], -v[42:43], v[58:59], v[56:57]
	s_wait_loadcnt 0x7
	v_mul_f64_e32 v[52:53], v[2:3], v[10:11]
	v_mul_f64_e64 v[54:55], v[2:3], -v[8:9]
	v_div_fmas_f64 v[42:43], v[42:43], v[44:45], v[58:59]
	v_div_scale_f64 v[56:57], vcc_lo, 1.0, v[46:47], 1.0
	s_delay_alu instid0(VALU_DEP_4)
	v_fmac_f64_e32 v[52:53], v[8:9], v[0:1]
	v_fma_f64 v[8:9], -v[48:49], v[50:51], 1.0
	v_fmac_f64_e32 v[54:55], v[10:11], v[0:1]
	global_load_b128 v[0:3], v61, s[4:5] scale_offset
	v_div_fixup_f64 v[40:41], v[42:43], v[40:41], 1.0
	v_fmac_f64_e32 v[50:51], v[50:51], v[8:9]
	global_load_b128 v[8:11], v60, s[8:9] scale_offset
	s_wait_xcnt 0x0
	s_load_b256 s[4:11], s[0:1], 0x30
	s_wait_xcnt 0x0
	s_mul_i32 s0, s3, s14
	v_mul_f64_e32 v[42:43], v[40:41], v[54:55]
	s_ashr_i32 s1, s0, 31
	s_delay_alu instid0(SALU_CYCLE_1)
	s_lshl_b64 s[0:1], s[0:1], 4
	s_wait_kmcnt 0x0
	s_add_nc_u64 s[6:7], s[6:7], s[0:1]
	s_add_nc_u64 s[2:3], s[10:11], s[0:1]
	;; [unrolled: 1-line block ×4, first 2 shown]
	v_fma_f64 v[44:45], -v[48:49], v[50:51], 1.0
	s_delay_alu instid0(VALU_DEP_1) | instskip(NEXT) | instid1(VALU_DEP_1)
	v_fmac_f64_e32 v[50:51], v[50:51], v[44:45]
	v_mul_f64_e32 v[44:45], v[56:57], v[50:51]
	s_delay_alu instid0(VALU_DEP_1) | instskip(SKIP_3) | instid1(VALU_DEP_3)
	v_fma_f64 v[48:49], -v[48:49], v[44:45], v[56:57]
	s_wait_loadcnt 0x6
	v_mul_f64_e64 v[56:57], v[6:7], -v[20:21]
	v_mul_f64_e32 v[6:7], v[6:7], v[22:23]
	v_div_fmas_f64 v[44:45], v[48:49], v[50:51], v[44:45]
	s_delay_alu instid0(VALU_DEP_3) | instskip(NEXT) | instid1(VALU_DEP_3)
	v_fmac_f64_e32 v[56:57], v[22:23], v[4:5]
	v_fmac_f64_e32 v[6:7], v[20:21], v[4:5]
	v_mul_f64_e32 v[20:21], v[40:41], v[52:53]
	s_wait_loadcnt 0x4
	v_mul_f64_e64 v[40:41], v[42:43], -v[30:31]
	s_wait_loadcnt 0x3
	v_mul_f64_e32 v[48:49], v[42:43], v[32:33]
	v_div_fixup_f64 v[22:23], v[44:45], v[46:47], 1.0
	v_mul_f64_e32 v[44:45], v[42:43], v[28:29]
	v_mul_f64_e64 v[46:47], v[42:43], -v[34:35]
	v_fmac_f64_e32 v[40:41], v[28:29], v[20:21]
	v_fmac_f64_e32 v[48:49], v[34:35], v[20:21]
	v_mul_f64_e64 v[28:29], v[42:43], -v[12:13]
	v_mul_f64_e32 v[4:5], v[22:23], v[56:57]
	v_mul_f64_e32 v[22:23], v[22:23], v[6:7]
	v_fmac_f64_e32 v[44:45], v[30:31], v[20:21]
	v_fmac_f64_e32 v[46:47], v[32:33], v[20:21]
	v_mul_f64_e32 v[6:7], v[42:43], v[14:15]
	v_mul_f64_e64 v[50:51], v[4:5], -v[18:19]
	v_mul_f64_e32 v[52:53], v[4:5], v[16:17]
	s_wait_loadcnt 0x2
	v_mul_f64_e64 v[54:55], v[4:5], -v[38:39]
	v_mul_f64_e32 v[56:57], v[36:37], v[4:5]
	s_delay_alu instid0(VALU_DEP_4) | instskip(NEXT) | instid1(VALU_DEP_4)
	v_fmac_f64_e32 v[50:51], v[16:17], v[22:23]
	v_fmac_f64_e32 v[52:53], v[18:19], v[22:23]
	v_add_f64_e64 v[16:17], v[24:25], -v[40:41]
	v_add_f64_e64 v[18:19], v[26:27], -v[44:45]
	v_fmac_f64_e32 v[54:55], v[36:37], v[22:23]
	v_fmac_f64_e32 v[56:57], v[38:39], v[22:23]
	s_wait_loadcnt 0x1
	v_mul_f64_e32 v[30:31], v[4:5], v[2:3]
	v_mul_f64_e64 v[32:33], v[4:5], -v[0:1]
	v_fma_f64 v[4:5], -v[12:13], v[20:21], v[6:7]
	v_fma_f64 v[6:7], -v[14:15], v[20:21], v[28:29]
	s_wait_loadcnt 0x0
	v_add_f64_e64 v[24:25], v[8:9], -v[46:47]
	v_add_f64_e64 v[26:27], v[10:11], -v[48:49]
	;; [unrolled: 1-line block ×4, first 2 shown]
	v_fma_f64 v[0:1], -v[0:1], v[22:23], v[30:31]
	v_fma_f64 v[2:3], -v[2:3], v[22:23], v[32:33]
	v_add_f64_e64 v[12:13], v[24:25], -v[54:55]
	v_add_f64_e64 v[14:15], v[26:27], -v[56:57]
	s_clause 0x3
	global_store_b128 v60, v[8:11], s[6:7] scale_offset
	global_store_b128 v60, v[4:7], s[0:1] scale_offset
	;; [unrolled: 1-line block ×4, first 2 shown]
	s_endpgm
	.section	.rodata,"a",@progbits
	.p2align	6, 0x0
	.amdhsa_kernel _ZN9rocsparseL49gtsv_nopivot_strided_batch_pcr_pow2_stage1_kernelILj256E21rocsparse_complex_numIdEEEviiiiPKT0_S5_S5_S5_PS3_S6_S6_S6_
		.amdhsa_group_segment_fixed_size 0
		.amdhsa_private_segment_fixed_size 0
		.amdhsa_kernarg_size 80
		.amdhsa_user_sgpr_count 2
		.amdhsa_user_sgpr_dispatch_ptr 0
		.amdhsa_user_sgpr_queue_ptr 0
		.amdhsa_user_sgpr_kernarg_segment_ptr 1
		.amdhsa_user_sgpr_dispatch_id 0
		.amdhsa_user_sgpr_kernarg_preload_length 0
		.amdhsa_user_sgpr_kernarg_preload_offset 0
		.amdhsa_user_sgpr_private_segment_size 0
		.amdhsa_wavefront_size32 1
		.amdhsa_uses_dynamic_stack 0
		.amdhsa_enable_private_segment 0
		.amdhsa_system_sgpr_workgroup_id_x 1
		.amdhsa_system_sgpr_workgroup_id_y 1
		.amdhsa_system_sgpr_workgroup_id_z 0
		.amdhsa_system_sgpr_workgroup_info 0
		.amdhsa_system_vgpr_workitem_id 0
		.amdhsa_next_free_vgpr 62
		.amdhsa_next_free_sgpr 19
		.amdhsa_named_barrier_count 0
		.amdhsa_reserve_vcc 1
		.amdhsa_float_round_mode_32 0
		.amdhsa_float_round_mode_16_64 0
		.amdhsa_float_denorm_mode_32 3
		.amdhsa_float_denorm_mode_16_64 3
		.amdhsa_fp16_overflow 0
		.amdhsa_memory_ordered 1
		.amdhsa_forward_progress 1
		.amdhsa_inst_pref_size 8
		.amdhsa_round_robin_scheduling 0
		.amdhsa_exception_fp_ieee_invalid_op 0
		.amdhsa_exception_fp_denorm_src 0
		.amdhsa_exception_fp_ieee_div_zero 0
		.amdhsa_exception_fp_ieee_overflow 0
		.amdhsa_exception_fp_ieee_underflow 0
		.amdhsa_exception_fp_ieee_inexact 0
		.amdhsa_exception_int_div_zero 0
	.end_amdhsa_kernel
	.section	.text._ZN9rocsparseL49gtsv_nopivot_strided_batch_pcr_pow2_stage1_kernelILj256E21rocsparse_complex_numIdEEEviiiiPKT0_S5_S5_S5_PS3_S6_S6_S6_,"axG",@progbits,_ZN9rocsparseL49gtsv_nopivot_strided_batch_pcr_pow2_stage1_kernelILj256E21rocsparse_complex_numIdEEEviiiiPKT0_S5_S5_S5_PS3_S6_S6_S6_,comdat
.Lfunc_end80:
	.size	_ZN9rocsparseL49gtsv_nopivot_strided_batch_pcr_pow2_stage1_kernelILj256E21rocsparse_complex_numIdEEEviiiiPKT0_S5_S5_S5_PS3_S6_S6_S6_, .Lfunc_end80-_ZN9rocsparseL49gtsv_nopivot_strided_batch_pcr_pow2_stage1_kernelILj256E21rocsparse_complex_numIdEEEviiiiPKT0_S5_S5_S5_PS3_S6_S6_S6_
                                        ; -- End function
	.set _ZN9rocsparseL49gtsv_nopivot_strided_batch_pcr_pow2_stage1_kernelILj256E21rocsparse_complex_numIdEEEviiiiPKT0_S5_S5_S5_PS3_S6_S6_S6_.num_vgpr, 62
	.set _ZN9rocsparseL49gtsv_nopivot_strided_batch_pcr_pow2_stage1_kernelILj256E21rocsparse_complex_numIdEEEviiiiPKT0_S5_S5_S5_PS3_S6_S6_S6_.num_agpr, 0
	.set _ZN9rocsparseL49gtsv_nopivot_strided_batch_pcr_pow2_stage1_kernelILj256E21rocsparse_complex_numIdEEEviiiiPKT0_S5_S5_S5_PS3_S6_S6_S6_.numbered_sgpr, 19
	.set _ZN9rocsparseL49gtsv_nopivot_strided_batch_pcr_pow2_stage1_kernelILj256E21rocsparse_complex_numIdEEEviiiiPKT0_S5_S5_S5_PS3_S6_S6_S6_.num_named_barrier, 0
	.set _ZN9rocsparseL49gtsv_nopivot_strided_batch_pcr_pow2_stage1_kernelILj256E21rocsparse_complex_numIdEEEviiiiPKT0_S5_S5_S5_PS3_S6_S6_S6_.private_seg_size, 0
	.set _ZN9rocsparseL49gtsv_nopivot_strided_batch_pcr_pow2_stage1_kernelILj256E21rocsparse_complex_numIdEEEviiiiPKT0_S5_S5_S5_PS3_S6_S6_S6_.uses_vcc, 1
	.set _ZN9rocsparseL49gtsv_nopivot_strided_batch_pcr_pow2_stage1_kernelILj256E21rocsparse_complex_numIdEEEviiiiPKT0_S5_S5_S5_PS3_S6_S6_S6_.uses_flat_scratch, 0
	.set _ZN9rocsparseL49gtsv_nopivot_strided_batch_pcr_pow2_stage1_kernelILj256E21rocsparse_complex_numIdEEEviiiiPKT0_S5_S5_S5_PS3_S6_S6_S6_.has_dyn_sized_stack, 0
	.set _ZN9rocsparseL49gtsv_nopivot_strided_batch_pcr_pow2_stage1_kernelILj256E21rocsparse_complex_numIdEEEviiiiPKT0_S5_S5_S5_PS3_S6_S6_S6_.has_recursion, 0
	.set _ZN9rocsparseL49gtsv_nopivot_strided_batch_pcr_pow2_stage1_kernelILj256E21rocsparse_complex_numIdEEEviiiiPKT0_S5_S5_S5_PS3_S6_S6_S6_.has_indirect_call, 0
	.section	.AMDGPU.csdata,"",@progbits
; Kernel info:
; codeLenInByte = 932
; TotalNumSgprs: 21
; NumVgprs: 62
; ScratchSize: 0
; MemoryBound: 0
; FloatMode: 240
; IeeeMode: 1
; LDSByteSize: 0 bytes/workgroup (compile time only)
; SGPRBlocks: 0
; VGPRBlocks: 3
; NumSGPRsForWavesPerEU: 21
; NumVGPRsForWavesPerEU: 62
; NamedBarCnt: 0
; Occupancy: 16
; WaveLimiterHint : 0
; COMPUTE_PGM_RSRC2:SCRATCH_EN: 0
; COMPUTE_PGM_RSRC2:USER_SGPR: 2
; COMPUTE_PGM_RSRC2:TRAP_HANDLER: 0
; COMPUTE_PGM_RSRC2:TGID_X_EN: 1
; COMPUTE_PGM_RSRC2:TGID_Y_EN: 1
; COMPUTE_PGM_RSRC2:TGID_Z_EN: 0
; COMPUTE_PGM_RSRC2:TIDIG_COMP_CNT: 0
	.section	.text._ZN9rocsparseL48gtsv_nopivot_strided_batch_cr_pow2_stage2_kernelILj256E21rocsparse_complex_numIdEEEviiiPKT0_S5_S5_S5_PS3_,"axG",@progbits,_ZN9rocsparseL48gtsv_nopivot_strided_batch_cr_pow2_stage2_kernelILj256E21rocsparse_complex_numIdEEEviiiPKT0_S5_S5_S5_PS3_,comdat
	.globl	_ZN9rocsparseL48gtsv_nopivot_strided_batch_cr_pow2_stage2_kernelILj256E21rocsparse_complex_numIdEEEviiiPKT0_S5_S5_S5_PS3_ ; -- Begin function _ZN9rocsparseL48gtsv_nopivot_strided_batch_cr_pow2_stage2_kernelILj256E21rocsparse_complex_numIdEEEviiiPKT0_S5_S5_S5_PS3_
	.p2align	8
	.type	_ZN9rocsparseL48gtsv_nopivot_strided_batch_cr_pow2_stage2_kernelILj256E21rocsparse_complex_numIdEEEviiiPKT0_S5_S5_S5_PS3_,@function
_ZN9rocsparseL48gtsv_nopivot_strided_batch_cr_pow2_stage2_kernelILj256E21rocsparse_complex_numIdEEEviiiPKT0_S5_S5_S5_PS3_: ; @_ZN9rocsparseL48gtsv_nopivot_strided_batch_cr_pow2_stage2_kernelILj256E21rocsparse_complex_numIdEEEviiiPKT0_S5_S5_S5_PS3_
; %bb.0:
	s_load_b96 s[12:14], s[0:1], 0x30
	s_bfe_u32 s3, ttmp6, 0x4000c
	s_bfe_u32 s15, ttmp6, 0x40010
	s_add_co_i32 s3, s3, 1
	s_add_co_i32 s15, s15, 1
	s_and_b32 s2, ttmp6, 15
	s_bfe_u32 s16, ttmp6, 0x40004
	s_clause 0x1
	s_load_b32 s18, s[0:1], 0x0
	s_load_b256 s[4:11], s[0:1], 0x10
	s_mul_i32 s3, ttmp9, s3
	s_mul_i32 s15, ttmp7, s15
	s_getreg_b32 s17, hwreg(HW_REG_IB_STS2, 6, 4)
	s_add_co_i32 s2, s2, s3
	s_add_co_i32 s16, s16, s15
	s_cmp_eq_u32 s17, 0
	s_cselect_b32 s2, ttmp9, s2
	s_cselect_b32 s3, ttmp7, s16
	s_wait_kmcnt 0x0
	v_mad_u32 v1, s14, v0, s2
	s_mul_i32 s18, s18, s3
	s_delay_alu instid0(VALU_DEP_1) | instskip(NEXT) | instid1(VALU_DEP_1)
	v_lshl_add_u32 v6, s14, 8, v1
	v_dual_add_nc_u32 v2, s18, v1 :: v_dual_add_nc_u32 v3, s18, v6
	s_clause 0x3
	global_load_b128 v[10:13], v2, s[8:9] scale_offset
	global_load_b128 v[14:17], v2, s[10:11] scale_offset
	;; [unrolled: 1-line block ×4, first 2 shown]
	s_clause 0x3
	global_load_b128 v[26:29], v3, s[4:5] scale_offset
	global_load_b128 v[30:33], v3, s[6:7] scale_offset
	;; [unrolled: 1-line block ×4, first 2 shown]
	s_wait_xcnt 0x0
	v_dual_lshlrev_b32 v3, 4, v0 :: v_dual_add_nc_u32 v2, 1, v0
	s_mov_b32 s8, 0
	s_mov_b32 s4, 1
	;; [unrolled: 1-line block ×5, first 2 shown]
	v_mov_b64_e32 v[44:45], s[10:11]
	v_or_b32_e32 v5, 0x4000, v3
	v_or_b32_e32 v7, 0x6000, v3
	;; [unrolled: 1-line block ×3, first 2 shown]
	v_mov_b64_e32 v[42:43], s[8:9]
	v_or_b32_e32 v9, 0x8000, v3
	s_mov_b32 s5, 8
	s_movk_i32 s6, 0x100
	v_or_b32_e32 v4, 0x2000, v3
	v_or_b32_e32 v46, 0x1000, v3
	v_or_b32_e32 v47, 0x3000, v3
	v_or_b32_e32 v48, 0x5000, v3
	v_or_b32_e32 v49, 0x9000, v3
	s_wait_loadcnt 0x7
	ds_store_2addr_b64 v5, v[10:11], v[12:13] offset1:1
	s_wait_loadcnt 0x6
	ds_store_2addr_b64 v9, v[14:15], v[16:17] offset1:1
	;; [unrolled: 2-line block ×3, first 2 shown]
	ds_store_b128 v3, v[42:45] offset:24576
	s_wait_loadcnt 0x4
	ds_store_2addr_b64 v4, v[22:23], v[24:25] offset1:1
	ds_store_b128 v3, v[42:45] offset:28672
	s_wait_loadcnt 0x3
	ds_store_2addr_b64 v46, v[26:27], v[28:29] offset1:1
	s_wait_loadcnt 0x2
	ds_store_2addr_b64 v47, v[30:31], v[32:33] offset1:1
	;; [unrolled: 2-line block ×4, first 2 shown]
	s_wait_dscnt 0x0
	s_barrier_signal -1
	s_barrier_wait -1
	s_branch .LBB81_2
.LBB81_1:                               ;   in Loop: Header=BB81_2 Depth=1
	s_or_b32 exec_lo, exec_lo, s7
	s_add_co_i32 s5, s5, -1
	s_lshr_b32 s6, s6, 1
	s_cmp_eq_u32 s5, 0
	s_wait_dscnt 0x0
	s_barrier_signal -1
	s_barrier_wait -1
	s_cbranch_scc1 .LBB81_4
.LBB81_2:                               ; =>This Inner Loop Header: Depth=1
	s_lshl_b32 s4, s4, 1
	s_mov_b32 s7, exec_lo
	v_cmpx_gt_u32_e64 s6, v0
	s_cbranch_execz .LBB81_1
; %bb.3:                                ;   in Loop: Header=BB81_2 Depth=1
	v_mad_u32 v3, s4, v2, -1
	s_ashr_i32 s2, s4, 1
	s_delay_alu instid0(VALU_DEP_1) | instid1(SALU_CYCLE_1)
	v_subrev_nc_u32_e32 v4, s2, v3
	v_add_min_u32_e64 v18, v3, s2, 0x1ff
	s_delay_alu instid0(VALU_DEP_2) | instskip(NEXT) | instid1(VALU_DEP_2)
	v_dual_lshlrev_b32 v3, 4, v3 :: v_dual_lshlrev_b32 v9, 4, v4
	v_lshlrev_b32_e32 v58, 4, v18
	ds_load_b128 v[10:13], v9 offset:8192
	ds_load_b128 v[14:17], v9 offset:16384
	;; [unrolled: 1-line block ×4, first 2 shown]
	s_wait_dscnt 0x3
	v_mul_f64_e32 v[4:5], v[12:13], v[12:13]
	s_wait_dscnt 0x1
	v_mul_f64_e32 v[42:43], v[20:21], v[20:21]
	s_delay_alu instid0(VALU_DEP_2) | instskip(NEXT) | instid1(VALU_DEP_2)
	v_fmac_f64_e32 v[4:5], v[10:11], v[10:11]
	v_fmac_f64_e32 v[42:43], v[18:19], v[18:19]
	s_delay_alu instid0(VALU_DEP_2) | instskip(NEXT) | instid1(VALU_DEP_2)
	v_div_scale_f64 v[26:27], null, v[4:5], v[4:5], 1.0
	v_div_scale_f64 v[34:35], null, v[42:43], v[42:43], 1.0
	v_div_scale_f64 v[32:33], vcc_lo, 1.0, v[4:5], 1.0
	v_div_scale_f64 v[38:39], s2, 1.0, v[42:43], 1.0
	s_delay_alu instid0(VALU_DEP_4) | instskip(NEXT) | instid1(VALU_DEP_3)
	v_rcp_f64_e32 v[36:37], v[26:27]
	v_rcp_f64_e32 v[44:45], v[34:35]
	s_delay_alu instid0(TRANS32_DEP_2) | instskip(NEXT) | instid1(TRANS32_DEP_1)
	v_fma_f64 v[28:29], -v[26:27], v[36:37], 1.0
	v_fma_f64 v[30:31], -v[34:35], v[44:45], 1.0
	s_delay_alu instid0(VALU_DEP_2) | instskip(NEXT) | instid1(VALU_DEP_2)
	v_fmac_f64_e32 v[36:37], v[36:37], v[28:29]
	v_fmac_f64_e32 v[44:45], v[44:45], v[30:31]
	s_delay_alu instid0(VALU_DEP_2) | instskip(NEXT) | instid1(VALU_DEP_2)
	v_fma_f64 v[28:29], -v[26:27], v[36:37], 1.0
	v_fma_f64 v[30:31], -v[34:35], v[44:45], 1.0
	s_delay_alu instid0(VALU_DEP_2) | instskip(NEXT) | instid1(VALU_DEP_2)
	v_fmac_f64_e32 v[36:37], v[36:37], v[28:29]
	v_fmac_f64_e32 v[44:45], v[44:45], v[30:31]
	s_delay_alu instid0(VALU_DEP_2) | instskip(NEXT) | instid1(VALU_DEP_2)
	v_mul_f64_e32 v[40:41], v[32:33], v[36:37]
	v_mul_f64_e32 v[46:47], v[38:39], v[44:45]
	s_delay_alu instid0(VALU_DEP_2)
	v_fma_f64 v[48:49], -v[26:27], v[40:41], v[32:33]
	ds_load_b128 v[26:29], v3
	ds_load_b128 v[30:33], v3 offset:32768
	v_fma_f64 v[50:51], -v[34:35], v[46:47], v[38:39]
	s_wait_dscnt 0x1
	v_mul_f64_e64 v[52:53], v[12:13], -v[26:27]
	v_div_fmas_f64 v[48:49], v[48:49], v[36:37], v[40:41]
	ds_load_b128 v[34:37], v3 offset:16384
	ds_load_b128 v[38:41], v3 offset:8192
	s_mov_b32 vcc_lo, s2
	v_div_fmas_f64 v[44:45], v[50:51], v[44:45], v[46:47]
	v_mul_f64_e32 v[46:47], v[12:13], v[28:29]
	s_wait_dscnt 0x1
	v_mul_f64_e64 v[54:55], v[20:21], -v[34:35]
	v_fmac_f64_e32 v[52:53], v[28:29], v[10:11]
	v_div_fixup_f64 v[4:5], v[48:49], v[4:5], 1.0
	v_mul_f64_e32 v[48:49], v[20:21], v[36:37]
	v_div_fixup_f64 v[42:43], v[44:45], v[42:43], 1.0
	v_fmac_f64_e32 v[46:47], v[26:27], v[10:11]
	ds_load_b128 v[10:13], v9 offset:32768
	v_fmac_f64_e32 v[54:55], v[36:37], v[18:19]
	v_mul_f64_e32 v[44:45], v[4:5], v[52:53]
	v_fmac_f64_e32 v[48:49], v[34:35], v[18:19]
	ds_load_b128 v[18:21], v9
	ds_load_b128 v[26:29], v58
	ds_load_b128 v[34:37], v58 offset:32768
	v_mul_f64_e32 v[4:5], v[4:5], v[46:47]
	v_mul_f64_e32 v[50:51], v[42:43], v[54:55]
	s_wait_dscnt 0x3
	v_mul_f64_e64 v[46:47], v[44:45], -v[12:13]
	v_mul_f64_e32 v[52:53], v[44:45], v[10:11]
	v_mul_f64_e64 v[54:55], v[44:45], -v[16:17]
	v_mul_f64_e32 v[56:57], v[44:45], v[14:15]
	v_mul_f64_e32 v[42:43], v[42:43], v[48:49]
	s_wait_dscnt 0x1
	v_mul_f64_e64 v[48:49], v[50:51], -v[28:29]
	s_wait_dscnt 0x0
	v_mul_f64_e64 v[60:61], v[50:51], -v[36:37]
	v_mul_f64_e32 v[62:63], v[50:51], v[34:35]
	v_mul_f64_e32 v[58:59], v[50:51], v[26:27]
	v_fmac_f64_e32 v[46:47], v[10:11], v[4:5]
	v_fmac_f64_e32 v[52:53], v[12:13], v[4:5]
	;; [unrolled: 1-line block ×4, first 2 shown]
	v_mul_f64_e32 v[10:11], v[44:45], v[20:21]
	v_mul_f64_e64 v[12:13], v[44:45], -v[18:19]
	v_mul_f64_e32 v[14:15], v[50:51], v[24:25]
	v_fmac_f64_e32 v[48:49], v[26:27], v[42:43]
	v_fmac_f64_e32 v[60:61], v[34:35], v[42:43]
	;; [unrolled: 1-line block ×4, first 2 shown]
	v_add_f64_e64 v[16:17], v[30:31], -v[46:47]
	v_add_f64_e64 v[26:27], v[32:33], -v[52:53]
	;; [unrolled: 1-line block ×4, first 2 shown]
	v_mul_f64_e64 v[32:33], v[50:51], -v[22:23]
	v_fma_f64 v[10:11], -v[18:19], v[4:5], v[10:11]
	v_fma_f64 v[12:13], -v[20:21], v[4:5], v[12:13]
	v_fma_f64 v[14:15], -v[22:23], v[42:43], v[14:15]
	v_add_f64_e64 v[18:19], v[16:17], -v[60:61]
	v_add_f64_e64 v[20:21], v[26:27], -v[62:63]
	;; [unrolled: 1-line block ×4, first 2 shown]
	v_fma_f64 v[16:17], -v[24:25], v[42:43], v[32:33]
	ds_store_b128 v3, v[18:21] offset:32768
	ds_store_b128 v3, v[10:13]
	ds_store_b128 v3, v[26:29] offset:8192
	ds_store_b128 v3, v[14:17] offset:16384
	s_branch .LBB81_1
.LBB81_4:
	s_mov_b32 s2, exec_lo
	v_cmpx_eq_u32_e32 0, v0
	s_cbranch_execz .LBB81_6
; %bb.5:
	v_mov_b32_e32 v9, 0
	ds_load_b128 v[2:5], v9 offset:12272
	ds_load_b128 v[10:13], v9 offset:8176
	;; [unrolled: 1-line block ×4, first 2 shown]
	s_wait_dscnt 0x1
	v_mul_f64_e32 v[22:23], v[4:5], v[14:15]
	s_wait_dscnt 0x0
	v_mul_f64_e32 v[24:25], v[12:13], v[18:19]
	v_mul_f64_e64 v[26:27], v[4:5], -v[16:17]
	v_mul_f64_e64 v[28:29], v[12:13], -v[20:21]
	s_delay_alu instid0(VALU_DEP_4) | instskip(NEXT) | instid1(VALU_DEP_4)
	v_fmac_f64_e32 v[22:23], v[16:17], v[2:3]
	v_fmac_f64_e32 v[24:25], v[20:21], v[10:11]
	s_delay_alu instid0(VALU_DEP_4) | instskip(NEXT) | instid1(VALU_DEP_4)
	v_fmac_f64_e32 v[26:27], v[14:15], v[2:3]
	v_fmac_f64_e32 v[28:29], v[18:19], v[10:11]
	s_delay_alu instid0(VALU_DEP_3) | instskip(NEXT) | instid1(VALU_DEP_2)
	v_add_f64_e64 v[30:31], v[22:23], -v[24:25]
	v_add_f64_e64 v[32:33], v[26:27], -v[28:29]
	s_delay_alu instid0(VALU_DEP_2) | instskip(NEXT) | instid1(VALU_DEP_1)
	v_mul_f64_e32 v[34:35], v[30:31], v[30:31]
	v_fmac_f64_e32 v[34:35], v[32:33], v[32:33]
	s_delay_alu instid0(VALU_DEP_1) | instskip(SKIP_1) | instid1(VALU_DEP_2)
	v_div_scale_f64 v[22:23], null, v[34:35], v[34:35], 1.0
	v_div_scale_f64 v[26:27], vcc_lo, 1.0, v[34:35], 1.0
	v_rcp_f64_e32 v[36:37], v[22:23]
	v_nop
	s_delay_alu instid0(TRANS32_DEP_1) | instskip(NEXT) | instid1(VALU_DEP_1)
	v_fma_f64 v[24:25], -v[22:23], v[36:37], 1.0
	v_fmac_f64_e32 v[36:37], v[36:37], v[24:25]
	s_delay_alu instid0(VALU_DEP_1) | instskip(NEXT) | instid1(VALU_DEP_1)
	v_fma_f64 v[24:25], -v[22:23], v[36:37], 1.0
	v_fmac_f64_e32 v[36:37], v[36:37], v[24:25]
	s_delay_alu instid0(VALU_DEP_1) | instskip(NEXT) | instid1(VALU_DEP_1)
	v_mul_f64_e32 v[38:39], v[26:27], v[36:37]
	v_fma_f64 v[40:41], -v[22:23], v[38:39], v[26:27]
	ds_load_b128 v[22:25], v9 offset:36848
	ds_load_b128 v[26:29], v9 offset:40944
	s_wait_dscnt 0x1
	v_mul_f64_e64 v[42:43], v[24:25], -v[16:17]
	v_mul_f64_e32 v[44:45], v[14:15], v[24:25]
	s_wait_dscnt 0x0
	v_mul_f64_e64 v[46:47], v[28:29], -v[20:21]
	v_mul_f64_e32 v[48:49], v[18:19], v[28:29]
	v_mul_f64_e64 v[50:51], v[4:5], -v[28:29]
	v_mul_f64_e32 v[4:5], v[4:5], v[26:27]
	v_div_fmas_f64 v[36:37], v[40:41], v[36:37], v[38:39]
	v_mul_f64_e32 v[38:39], v[12:13], v[22:23]
	v_mul_f64_e64 v[12:13], v[12:13], -v[24:25]
	v_fmac_f64_e32 v[42:43], v[14:15], v[22:23]
	v_fmac_f64_e32 v[44:45], v[16:17], v[22:23]
	;; [unrolled: 1-line block ×4, first 2 shown]
	v_fma_f64 v[14:15], v[32:33], 0, -v[30:31]
	v_fmac_f64_e32 v[50:51], v[26:27], v[2:3]
	v_fmac_f64_e32 v[4:5], v[28:29], v[2:3]
	v_fma_f64 v[2:3], 0, v[30:31], v[32:33]
	v_div_fixup_f64 v[16:17], v[36:37], v[34:35], 1.0
	v_fmac_f64_e32 v[38:39], v[24:25], v[10:11]
	v_fmac_f64_e32 v[12:13], v[22:23], v[10:11]
	v_add_f64_e64 v[20:21], v[42:43], -v[46:47]
	v_add_f64_e64 v[18:19], v[44:45], -v[48:49]
	v_mul_f64_e32 v[14:15], v[14:15], v[16:17]
	v_add_f64_e64 v[22:23], v[4:5], -v[38:39]
	v_add_f64_e64 v[24:25], v[50:51], -v[12:13]
	v_mul_f64_e32 v[16:17], v[2:3], v[16:17]
	s_delay_alu instid0(VALU_DEP_4) | instskip(SKIP_3) | instid1(VALU_DEP_4)
	v_mul_f64_e64 v[2:3], v[14:15], -v[18:19]
	v_mul_f64_e32 v[4:5], v[14:15], v[20:21]
	v_mul_f64_e64 v[10:11], v[14:15], -v[22:23]
	v_mul_f64_e32 v[12:13], v[14:15], v[24:25]
	v_fmac_f64_e32 v[2:3], v[20:21], v[16:17]
	s_delay_alu instid0(VALU_DEP_4) | instskip(NEXT) | instid1(VALU_DEP_4)
	v_fmac_f64_e32 v[4:5], v[18:19], v[16:17]
	v_fmac_f64_e32 v[10:11], v[24:25], v[16:17]
	s_delay_alu instid0(VALU_DEP_4)
	v_fmac_f64_e32 v[12:13], v[22:23], v[16:17]
	ds_store_b128 v9, v[2:5] offset:28656
	ds_store_b128 v9, v[10:13] offset:32752
.LBB81_6:
	s_or_b32 exec_lo, exec_lo, s2
	v_mov_b32_e32 v2, 0x100
	s_mov_b32 s2, 2
	s_mov_b32 s4, 8
	s_branch .LBB81_9
.LBB81_7:                               ;   in Loop: Header=BB81_9 Depth=1
	s_or_b32 exec_lo, exec_lo, s6
	s_wait_dscnt 0x0
	v_mov_b32_e32 v2, v9
.LBB81_8:                               ;   in Loop: Header=BB81_9 Depth=1
	s_or_b32 exec_lo, exec_lo, s5
	s_add_co_i32 s4, s4, -1
	s_lshl_b32 s2, s2, 1
	s_cmp_eq_u32 s4, 0
	s_cbranch_scc1 .LBB81_16
.LBB81_9:                               ; =>This Inner Loop Header: Depth=1
	s_delay_alu instid0(VALU_DEP_1)
	v_ashrrev_i32_e32 v9, 1, v2
	s_mov_b32 s5, exec_lo
	s_wait_dscnt 0x0
	s_barrier_signal -1
	s_barrier_wait -1
	v_cmpx_le_u32_e64 s2, v0
	s_xor_b32 s5, exec_lo, s5
; %bb.10:                               ;   in Loop: Header=BB81_9 Depth=1
	v_ashrrev_i32_e32 v2, 1, v2
                                        ; implicit-def: $vgpr9
; %bb.11:                               ;   in Loop: Header=BB81_9 Depth=1
	s_and_not1_saveexec_b32 s5, s5
	s_cbranch_execz .LBB81_8
; %bb.12:                               ;   in Loop: Header=BB81_9 Depth=1
	s_delay_alu instid0(VALU_DEP_1) | instskip(SKIP_2) | instid1(VALU_DEP_1)
	v_mul_lo_u32 v3, v2, v0
	v_lshrrev_b32_e32 v2, 1, v2
	s_mov_b32 s6, exec_lo
	v_add3_u32 v11, v2, v3, -1
	s_delay_alu instid0(VALU_DEP_1)
	v_dual_lshlrev_b32 v10, 4, v11 :: v_dual_sub_nc_u32 v12, v11, v9
	v_add_nc_u32_e32 v11, v11, v9
	ds_load_b128 v[2:5], v10 offset:32768
	v_lshlrev_b32_e32 v11, 4, v11
	v_cmpx_lt_i32_e32 -1, v12
	s_xor_b32 s6, exec_lo, s6
	s_cbranch_execz .LBB81_14
; %bb.13:                               ;   in Loop: Header=BB81_9 Depth=1
	ds_load_b128 v[14:17], v10 offset:8192
	v_lshlrev_b32_e32 v12, 4, v12
	s_wait_dscnt 0x0
	v_mul_f64_e32 v[34:35], v[16:17], v[16:17]
	s_delay_alu instid0(VALU_DEP_1) | instskip(NEXT) | instid1(VALU_DEP_1)
	v_fmac_f64_e32 v[34:35], v[14:15], v[14:15]
	v_div_scale_f64 v[36:37], null, v[34:35], v[34:35], 1.0
	s_delay_alu instid0(VALU_DEP_1) | instskip(SKIP_1) | instid1(TRANS32_DEP_1)
	v_rcp_f64_e32 v[38:39], v[36:37]
	v_nop
	v_fma_f64 v[18:19], -v[36:37], v[38:39], 1.0
	s_delay_alu instid0(VALU_DEP_1)
	v_fmac_f64_e32 v[38:39], v[38:39], v[18:19]
	ds_load_b128 v[18:21], v10
	ds_load_b128 v[22:25], v12 offset:24576
	ds_load_b128 v[26:29], v11 offset:24576
	;; [unrolled: 1-line block ×3, first 2 shown]
                                        ; implicit-def: $vgpr11
	s_wait_dscnt 0x2
	v_mul_f64_e32 v[12:13], v[24:25], v[18:19]
	v_mul_f64_e64 v[24:25], v[24:25], -v[20:21]
	s_wait_dscnt 0x0
	v_mul_f64_e64 v[42:43], v[28:29], -v[32:33]
	v_mul_f64_e32 v[28:29], v[28:29], v[30:31]
	v_fma_f64 v[40:41], -v[36:37], v[38:39], 1.0
	v_fmac_f64_e32 v[12:13], v[20:21], v[22:23]
	v_div_scale_f64 v[20:21], vcc_lo, 1.0, v[34:35], 1.0
	v_fmac_f64_e32 v[24:25], v[18:19], v[22:23]
	v_fmac_f64_e32 v[28:29], v[32:33], v[26:27]
	;; [unrolled: 1-line block ×4, first 2 shown]
	v_add_f64_e64 v[4:5], v[4:5], -v[12:13]
	v_add_f64_e64 v[2:3], v[2:3], -v[24:25]
	s_delay_alu instid0(VALU_DEP_3) | instskip(NEXT) | instid1(VALU_DEP_3)
	v_mul_f64_e32 v[12:13], v[20:21], v[38:39]
	v_add_f64_e64 v[4:5], v[4:5], -v[28:29]
	s_delay_alu instid0(VALU_DEP_3) | instskip(NEXT) | instid1(VALU_DEP_3)
	v_add_f64_e64 v[2:3], v[2:3], -v[42:43]
	v_fma_f64 v[18:19], -v[36:37], v[12:13], v[20:21]
	s_delay_alu instid0(VALU_DEP_3) | instskip(NEXT) | instid1(VALU_DEP_3)
	v_mul_f64_e32 v[20:21], v[16:17], v[4:5]
	v_mul_f64_e64 v[16:17], v[16:17], -v[2:3]
	s_delay_alu instid0(VALU_DEP_3) | instskip(NEXT) | instid1(VALU_DEP_3)
	v_div_fmas_f64 v[12:13], v[18:19], v[38:39], v[12:13]
	v_fmac_f64_e32 v[20:21], v[2:3], v[14:15]
	s_delay_alu instid0(VALU_DEP_3) | instskip(NEXT) | instid1(VALU_DEP_3)
	v_fmac_f64_e32 v[16:17], v[4:5], v[14:15]
	v_div_fixup_f64 v[12:13], v[12:13], v[34:35], 1.0
	s_delay_alu instid0(VALU_DEP_1) | instskip(NEXT) | instid1(VALU_DEP_3)
	v_mul_f64_e32 v[2:3], v[20:21], v[12:13]
	v_mul_f64_e32 v[4:5], v[12:13], v[16:17]
	ds_store_b128 v10, v[2:5] offset:24576
                                        ; implicit-def: $vgpr10
                                        ; implicit-def: $vgpr2_vgpr3
.LBB81_14:                              ;   in Loop: Header=BB81_9 Depth=1
	s_and_not1_saveexec_b32 s6, s6
	s_cbranch_execz .LBB81_7
; %bb.15:                               ;   in Loop: Header=BB81_9 Depth=1
	ds_load_b128 v[12:15], v10 offset:8192
	s_wait_dscnt 0x0
	v_mul_f64_e32 v[24:25], v[14:15], v[14:15]
	s_delay_alu instid0(VALU_DEP_1) | instskip(NEXT) | instid1(VALU_DEP_1)
	v_fmac_f64_e32 v[24:25], v[12:13], v[12:13]
	v_div_scale_f64 v[26:27], null, v[24:25], v[24:25], 1.0
	v_div_scale_f64 v[34:35], vcc_lo, 1.0, v[24:25], 1.0
	s_delay_alu instid0(VALU_DEP_2) | instskip(SKIP_1) | instid1(TRANS32_DEP_1)
	v_rcp_f64_e32 v[28:29], v[26:27]
	v_nop
	v_fma_f64 v[16:17], -v[26:27], v[28:29], 1.0
	s_delay_alu instid0(VALU_DEP_1)
	v_fmac_f64_e32 v[28:29], v[28:29], v[16:17]
	ds_load_b128 v[16:19], v11 offset:24576
	ds_load_b128 v[20:23], v10 offset:16384
	s_wait_dscnt 0x0
	v_mul_f64_e32 v[32:33], v[18:19], v[20:21]
	v_mul_f64_e64 v[18:19], v[18:19], -v[22:23]
	v_fma_f64 v[30:31], -v[26:27], v[28:29], 1.0
	s_delay_alu instid0(VALU_DEP_3) | instskip(NEXT) | instid1(VALU_DEP_3)
	v_fmac_f64_e32 v[32:33], v[22:23], v[16:17]
	v_fmac_f64_e32 v[18:19], v[20:21], v[16:17]
	s_delay_alu instid0(VALU_DEP_3) | instskip(NEXT) | instid1(VALU_DEP_3)
	v_fmac_f64_e32 v[28:29], v[28:29], v[30:31]
	v_add_f64_e64 v[4:5], v[4:5], -v[32:33]
	s_delay_alu instid0(VALU_DEP_3) | instskip(NEXT) | instid1(VALU_DEP_3)
	v_add_f64_e64 v[2:3], v[2:3], -v[18:19]
	v_mul_f64_e32 v[22:23], v[34:35], v[28:29]
	s_delay_alu instid0(VALU_DEP_3) | instskip(NEXT) | instid1(VALU_DEP_3)
	v_mul_f64_e32 v[18:19], v[4:5], v[14:15]
	v_mul_f64_e64 v[14:15], v[14:15], -v[2:3]
	s_delay_alu instid0(VALU_DEP_3) | instskip(NEXT) | instid1(VALU_DEP_3)
	v_fma_f64 v[16:17], -v[26:27], v[22:23], v[34:35]
	v_fmac_f64_e32 v[18:19], v[2:3], v[12:13]
	s_delay_alu instid0(VALU_DEP_3) | instskip(NEXT) | instid1(VALU_DEP_3)
	v_fmac_f64_e32 v[14:15], v[4:5], v[12:13]
	v_div_fmas_f64 v[16:17], v[16:17], v[28:29], v[22:23]
	s_delay_alu instid0(VALU_DEP_1) | instskip(NEXT) | instid1(VALU_DEP_1)
	v_div_fixup_f64 v[16:17], v[16:17], v[24:25], 1.0
	v_mul_f64_e32 v[2:3], v[18:19], v[16:17]
	s_delay_alu instid0(VALU_DEP_4)
	v_mul_f64_e32 v[4:5], v[14:15], v[16:17]
	ds_store_b128 v10, v[2:5] offset:24576
	s_branch .LBB81_7
.LBB81_16:
	s_load_b32 s0, s[0:1], 0x8
	s_barrier_signal -1
	s_barrier_wait -1
	ds_load_2addr_b64 v[2:5], v7 offset1:1
	ds_load_2addr_b64 v[8:11], v8 offset1:1
	s_wait_kmcnt 0x0
	s_mul_i32 s0, s0, s3
	s_delay_alu instid0(SALU_CYCLE_1)
	v_dual_add_nc_u32 v0, s0, v1 :: v_dual_add_nc_u32 v1, s0, v6
	s_wait_dscnt 0x1
	global_store_b128 v0, v[2:5], s[12:13] scale_offset
	s_wait_dscnt 0x0
	global_store_b128 v1, v[8:11], s[12:13] scale_offset
	s_endpgm
	.section	.rodata,"a",@progbits
	.p2align	6, 0x0
	.amdhsa_kernel _ZN9rocsparseL48gtsv_nopivot_strided_batch_cr_pow2_stage2_kernelILj256E21rocsparse_complex_numIdEEEviiiPKT0_S5_S5_S5_PS3_
		.amdhsa_group_segment_fixed_size 40960
		.amdhsa_private_segment_fixed_size 0
		.amdhsa_kernarg_size 312
		.amdhsa_user_sgpr_count 2
		.amdhsa_user_sgpr_dispatch_ptr 0
		.amdhsa_user_sgpr_queue_ptr 0
		.amdhsa_user_sgpr_kernarg_segment_ptr 1
		.amdhsa_user_sgpr_dispatch_id 0
		.amdhsa_user_sgpr_kernarg_preload_length 0
		.amdhsa_user_sgpr_kernarg_preload_offset 0
		.amdhsa_user_sgpr_private_segment_size 0
		.amdhsa_wavefront_size32 1
		.amdhsa_uses_dynamic_stack 0
		.amdhsa_enable_private_segment 0
		.amdhsa_system_sgpr_workgroup_id_x 1
		.amdhsa_system_sgpr_workgroup_id_y 1
		.amdhsa_system_sgpr_workgroup_id_z 0
		.amdhsa_system_sgpr_workgroup_info 0
		.amdhsa_system_vgpr_workitem_id 0
		.amdhsa_next_free_vgpr 64
		.amdhsa_next_free_sgpr 19
		.amdhsa_named_barrier_count 0
		.amdhsa_reserve_vcc 1
		.amdhsa_float_round_mode_32 0
		.amdhsa_float_round_mode_16_64 0
		.amdhsa_float_denorm_mode_32 3
		.amdhsa_float_denorm_mode_16_64 3
		.amdhsa_fp16_overflow 0
		.amdhsa_memory_ordered 1
		.amdhsa_forward_progress 1
		.amdhsa_inst_pref_size 20
		.amdhsa_round_robin_scheduling 0
		.amdhsa_exception_fp_ieee_invalid_op 0
		.amdhsa_exception_fp_denorm_src 0
		.amdhsa_exception_fp_ieee_div_zero 0
		.amdhsa_exception_fp_ieee_overflow 0
		.amdhsa_exception_fp_ieee_underflow 0
		.amdhsa_exception_fp_ieee_inexact 0
		.amdhsa_exception_int_div_zero 0
	.end_amdhsa_kernel
	.section	.text._ZN9rocsparseL48gtsv_nopivot_strided_batch_cr_pow2_stage2_kernelILj256E21rocsparse_complex_numIdEEEviiiPKT0_S5_S5_S5_PS3_,"axG",@progbits,_ZN9rocsparseL48gtsv_nopivot_strided_batch_cr_pow2_stage2_kernelILj256E21rocsparse_complex_numIdEEEviiiPKT0_S5_S5_S5_PS3_,comdat
.Lfunc_end81:
	.size	_ZN9rocsparseL48gtsv_nopivot_strided_batch_cr_pow2_stage2_kernelILj256E21rocsparse_complex_numIdEEEviiiPKT0_S5_S5_S5_PS3_, .Lfunc_end81-_ZN9rocsparseL48gtsv_nopivot_strided_batch_cr_pow2_stage2_kernelILj256E21rocsparse_complex_numIdEEEviiiPKT0_S5_S5_S5_PS3_
                                        ; -- End function
	.set _ZN9rocsparseL48gtsv_nopivot_strided_batch_cr_pow2_stage2_kernelILj256E21rocsparse_complex_numIdEEEviiiPKT0_S5_S5_S5_PS3_.num_vgpr, 64
	.set _ZN9rocsparseL48gtsv_nopivot_strided_batch_cr_pow2_stage2_kernelILj256E21rocsparse_complex_numIdEEEviiiPKT0_S5_S5_S5_PS3_.num_agpr, 0
	.set _ZN9rocsparseL48gtsv_nopivot_strided_batch_cr_pow2_stage2_kernelILj256E21rocsparse_complex_numIdEEEviiiPKT0_S5_S5_S5_PS3_.numbered_sgpr, 19
	.set _ZN9rocsparseL48gtsv_nopivot_strided_batch_cr_pow2_stage2_kernelILj256E21rocsparse_complex_numIdEEEviiiPKT0_S5_S5_S5_PS3_.num_named_barrier, 0
	.set _ZN9rocsparseL48gtsv_nopivot_strided_batch_cr_pow2_stage2_kernelILj256E21rocsparse_complex_numIdEEEviiiPKT0_S5_S5_S5_PS3_.private_seg_size, 0
	.set _ZN9rocsparseL48gtsv_nopivot_strided_batch_cr_pow2_stage2_kernelILj256E21rocsparse_complex_numIdEEEviiiPKT0_S5_S5_S5_PS3_.uses_vcc, 1
	.set _ZN9rocsparseL48gtsv_nopivot_strided_batch_cr_pow2_stage2_kernelILj256E21rocsparse_complex_numIdEEEviiiPKT0_S5_S5_S5_PS3_.uses_flat_scratch, 0
	.set _ZN9rocsparseL48gtsv_nopivot_strided_batch_cr_pow2_stage2_kernelILj256E21rocsparse_complex_numIdEEEviiiPKT0_S5_S5_S5_PS3_.has_dyn_sized_stack, 0
	.set _ZN9rocsparseL48gtsv_nopivot_strided_batch_cr_pow2_stage2_kernelILj256E21rocsparse_complex_numIdEEEviiiPKT0_S5_S5_S5_PS3_.has_recursion, 0
	.set _ZN9rocsparseL48gtsv_nopivot_strided_batch_cr_pow2_stage2_kernelILj256E21rocsparse_complex_numIdEEEviiiPKT0_S5_S5_S5_PS3_.has_indirect_call, 0
	.section	.AMDGPU.csdata,"",@progbits
; Kernel info:
; codeLenInByte = 2464
; TotalNumSgprs: 21
; NumVgprs: 64
; ScratchSize: 0
; MemoryBound: 0
; FloatMode: 240
; IeeeMode: 1
; LDSByteSize: 40960 bytes/workgroup (compile time only)
; SGPRBlocks: 0
; VGPRBlocks: 3
; NumSGPRsForWavesPerEU: 21
; NumVGPRsForWavesPerEU: 64
; NamedBarCnt: 0
; Occupancy: 16
; WaveLimiterHint : 0
; COMPUTE_PGM_RSRC2:SCRATCH_EN: 0
; COMPUTE_PGM_RSRC2:USER_SGPR: 2
; COMPUTE_PGM_RSRC2:TRAP_HANDLER: 0
; COMPUTE_PGM_RSRC2:TGID_X_EN: 1
; COMPUTE_PGM_RSRC2:TGID_Y_EN: 1
; COMPUTE_PGM_RSRC2:TGID_Z_EN: 0
; COMPUTE_PGM_RSRC2:TIDIG_COMP_CNT: 0
	.section	.text._ZN9rocsparseL44gtsv_nopivot_strided_batch_pcr_stage1_kernelILj256E21rocsparse_complex_numIdEEEviiiiPKT0_S5_S5_S5_PS3_S6_S6_S6_,"axG",@progbits,_ZN9rocsparseL44gtsv_nopivot_strided_batch_pcr_stage1_kernelILj256E21rocsparse_complex_numIdEEEviiiiPKT0_S5_S5_S5_PS3_S6_S6_S6_,comdat
	.globl	_ZN9rocsparseL44gtsv_nopivot_strided_batch_pcr_stage1_kernelILj256E21rocsparse_complex_numIdEEEviiiiPKT0_S5_S5_S5_PS3_S6_S6_S6_ ; -- Begin function _ZN9rocsparseL44gtsv_nopivot_strided_batch_pcr_stage1_kernelILj256E21rocsparse_complex_numIdEEEviiiiPKT0_S5_S5_S5_PS3_S6_S6_S6_
	.p2align	8
	.type	_ZN9rocsparseL44gtsv_nopivot_strided_batch_pcr_stage1_kernelILj256E21rocsparse_complex_numIdEEEviiiiPKT0_S5_S5_S5_PS3_S6_S6_S6_,@function
_ZN9rocsparseL44gtsv_nopivot_strided_batch_pcr_stage1_kernelILj256E21rocsparse_complex_numIdEEEviiiiPKT0_S5_S5_S5_PS3_S6_S6_S6_: ; @_ZN9rocsparseL44gtsv_nopivot_strided_batch_pcr_stage1_kernelILj256E21rocsparse_complex_numIdEEEviiiiPKT0_S5_S5_S5_PS3_S6_S6_S6_
; %bb.0:
	s_load_b64 s[2:3], s[0:1], 0x0
	s_bfe_u32 s4, ttmp6, 0x4000c
	s_and_b32 s5, ttmp6, 15
	s_add_co_i32 s4, s4, 1
	s_getreg_b32 s12, hwreg(HW_REG_IB_STS2, 6, 4)
	s_mul_i32 s4, ttmp9, s4
	s_delay_alu instid0(SALU_CYCLE_1) | instskip(SKIP_2) | instid1(SALU_CYCLE_1)
	s_add_co_i32 s5, s5, s4
	s_cmp_eq_u32 s12, 0
	s_cselect_b32 s4, ttmp9, s5
	v_lshl_or_b32 v0, s4, 8, v0
	s_mov_b32 s4, exec_lo
	s_wait_kmcnt 0x0
	s_delay_alu instid0(VALU_DEP_1)
	v_cmpx_gt_i32_e64 s3, v0
	s_cbranch_execz .LBB82_2
; %bb.1:
	s_clause 0x1
	s_load_b32 s13, s[0:1], 0xc
	s_load_b256 s[4:11], s[0:1], 0x10
	s_bfe_u32 s14, ttmp6, 0x40010
	s_bfe_u32 s15, ttmp6, 0x40004
	s_add_co_i32 s14, s14, 1
	v_subrev_nc_u32_e32 v1, s2, v0
	s_mul_i32 s14, ttmp7, s14
	s_delay_alu instid0(SALU_CYCLE_1) | instskip(SKIP_1) | instid1(VALU_DEP_1)
	s_add_co_i32 s15, s15, s14
	s_cmp_eq_u32 s12, 0
	v_max_i32_e32 v1, 0, v1
	s_cselect_b32 s14, ttmp7, s15
	s_add_co_i32 s15, s3, -1
	s_delay_alu instid0(SALU_CYCLE_1) | instskip(SKIP_2) | instid1(SALU_CYCLE_1)
	v_add_min_i32_e64 v62, v0, s2, s15
	s_wait_kmcnt 0x0
	s_mul_i32 s12, s13, s14
	s_ashr_i32 s13, s12, 31
	s_delay_alu instid0(SALU_CYCLE_1) | instskip(NEXT) | instid1(SALU_CYCLE_1)
	s_lshl_b64 s[12:13], s[12:13], 4
	s_add_nc_u64 s[6:7], s[6:7], s[12:13]
	s_add_nc_u64 s[4:5], s[4:5], s[12:13]
	s_clause 0x1
	global_load_b128 v[2:5], v1, s[6:7] scale_offset
	global_load_b128 v[6:9], v62, s[6:7] scale_offset
	s_clause 0x2
	global_load_b128 v[10:13], v0, s[4:5] scale_offset
	global_load_b128 v[14:17], v1, s[4:5] scale_offset
	;; [unrolled: 1-line block ×3, first 2 shown]
	s_wait_xcnt 0x0
	s_add_nc_u64 s[4:5], s[8:9], s[12:13]
	s_add_nc_u64 s[8:9], s[10:11], s[12:13]
	global_load_b128 v[22:25], v0, s[4:5] scale_offset
	s_wait_loadcnt 0x5
	v_mul_f64_e32 v[42:43], v[4:5], v[4:5]
	s_wait_loadcnt 0x4
	v_mul_f64_e32 v[48:49], v[8:9], v[8:9]
	s_wait_loadcnt 0x3
	v_mul_f64_e64 v[56:57], v[4:5], -v[10:11]
	v_mul_f64_e32 v[54:55], v[4:5], v[12:13]
	s_delay_alu instid0(VALU_DEP_4) | instskip(NEXT) | instid1(VALU_DEP_4)
	v_fmac_f64_e32 v[42:43], v[2:3], v[2:3]
	v_fmac_f64_e32 v[48:49], v[6:7], v[6:7]
	s_delay_alu instid0(VALU_DEP_4) | instskip(NEXT) | instid1(VALU_DEP_4)
	v_fmac_f64_e32 v[56:57], v[12:13], v[2:3]
	v_fmac_f64_e32 v[54:55], v[10:11], v[2:3]
	s_delay_alu instid0(VALU_DEP_4) | instskip(NEXT) | instid1(VALU_DEP_4)
	v_div_scale_f64 v[44:45], null, v[42:43], v[42:43], 1.0
	v_div_scale_f64 v[50:51], null, v[48:49], v[48:49], 1.0
	v_div_scale_f64 v[58:59], vcc_lo, 1.0, v[42:43], 1.0
	s_delay_alu instid0(VALU_DEP_3) | instskip(NEXT) | instid1(VALU_DEP_2)
	v_rcp_f64_e32 v[46:47], v[44:45]
	v_rcp_f64_e32 v[52:53], v[50:51]
	s_delay_alu instid0(TRANS32_DEP_2) | instskip(NEXT) | instid1(TRANS32_DEP_1)
	v_fma_f64 v[26:27], -v[44:45], v[46:47], 1.0
	v_fma_f64 v[10:11], -v[50:51], v[52:53], 1.0
	s_delay_alu instid0(VALU_DEP_2) | instskip(SKIP_4) | instid1(VALU_DEP_1)
	v_fmac_f64_e32 v[46:47], v[46:47], v[26:27]
	global_load_b128 v[26:29], v1, s[4:5] scale_offset
	global_load_b128 v[30:33], v0, s[6:7] scale_offset
	v_fmac_f64_e32 v[52:53], v[52:53], v[10:11]
	v_fma_f64 v[34:35], -v[44:45], v[46:47], 1.0
	v_fmac_f64_e32 v[46:47], v[46:47], v[34:35]
	s_clause 0x2
	global_load_b128 v[34:37], v1, s[8:9] scale_offset
	global_load_b128 v[38:41], v62, s[8:9] scale_offset
	;; [unrolled: 1-line block ×4, first 2 shown]
	s_wait_xcnt 0x0
	s_load_b256 s[4:11], s[0:1], 0x30
	s_wait_xcnt 0x0
	s_mul_i32 s0, s3, s14
	s_delay_alu instid0(SALU_CYCLE_1) | instskip(NEXT) | instid1(SALU_CYCLE_1)
	s_ashr_i32 s1, s0, 31
	s_lshl_b64 s[0:1], s[0:1], 4
	s_wait_kmcnt 0x0
	s_add_nc_u64 s[2:3], s[4:5], s[0:1]
	s_add_nc_u64 s[4:5], s[6:7], s[0:1]
	;; [unrolled: 1-line block ×4, first 2 shown]
	v_mul_f64_e32 v[60:61], v[58:59], v[46:47]
	s_delay_alu instid0(VALU_DEP_1) | instskip(NEXT) | instid1(VALU_DEP_1)
	v_fma_f64 v[44:45], -v[44:45], v[60:61], v[58:59]
	v_div_fmas_f64 v[44:45], v[44:45], v[46:47], v[60:61]
	v_fma_f64 v[46:47], -v[50:51], v[52:53], 1.0
	v_div_scale_f64 v[58:59], vcc_lo, 1.0, v[48:49], 1.0
	s_delay_alu instid0(VALU_DEP_3) | instskip(NEXT) | instid1(VALU_DEP_3)
	v_div_fixup_f64 v[42:43], v[44:45], v[42:43], 1.0
	v_fmac_f64_e32 v[52:53], v[52:53], v[46:47]
	s_delay_alu instid0(VALU_DEP_2) | instskip(NEXT) | instid1(VALU_DEP_2)
	v_mul_f64_e32 v[44:45], v[42:43], v[56:57]
	v_mul_f64_e32 v[46:47], v[58:59], v[52:53]
	s_delay_alu instid0(VALU_DEP_1) | instskip(SKIP_3) | instid1(VALU_DEP_3)
	v_fma_f64 v[50:51], -v[50:51], v[46:47], v[58:59]
	s_wait_loadcnt 0x6
	v_mul_f64_e64 v[58:59], v[8:9], -v[22:23]
	v_mul_f64_e32 v[8:9], v[8:9], v[24:25]
	v_div_fmas_f64 v[46:47], v[50:51], v[52:53], v[46:47]
	s_delay_alu instid0(VALU_DEP_3) | instskip(NEXT) | instid1(VALU_DEP_3)
	v_fmac_f64_e32 v[58:59], v[24:25], v[6:7]
	v_fmac_f64_e32 v[8:9], v[22:23], v[6:7]
	v_mul_f64_e32 v[22:23], v[42:43], v[54:55]
	s_wait_loadcnt 0x5
	v_mul_f64_e64 v[42:43], v[44:45], -v[28:29]
	v_div_fixup_f64 v[24:25], v[46:47], v[48:49], 1.0
	v_mul_f64_e32 v[46:47], v[44:45], v[26:27]
	s_delay_alu instid0(VALU_DEP_3) | instskip(NEXT) | instid1(VALU_DEP_3)
	v_fmac_f64_e32 v[42:43], v[26:27], v[22:23]
	v_mul_f64_e32 v[6:7], v[24:25], v[58:59]
	v_mul_f64_e32 v[24:25], v[24:25], v[8:9]
	s_delay_alu instid0(VALU_DEP_4)
	v_fmac_f64_e32 v[46:47], v[28:29], v[22:23]
	v_mul_f64_e32 v[8:9], v[44:45], v[16:17]
	v_mul_f64_e64 v[26:27], v[44:45], -v[14:15]
	s_wait_loadcnt 0x3
	v_mul_f64_e64 v[48:49], v[44:45], -v[36:37]
	v_mul_f64_e32 v[50:51], v[44:45], v[34:35]
	v_mul_f64_e64 v[52:53], v[6:7], -v[20:21]
	v_mul_f64_e32 v[54:55], v[6:7], v[18:19]
	s_wait_loadcnt 0x2
	v_mul_f64_e64 v[56:57], v[6:7], -v[40:41]
	v_mul_f64_e32 v[58:59], v[38:39], v[6:7]
	s_wait_loadcnt 0x0
	v_mul_f64_e32 v[28:29], v[6:7], v[4:5]
	v_fmac_f64_e32 v[48:49], v[34:35], v[22:23]
	v_fmac_f64_e32 v[50:51], v[36:37], v[22:23]
	;; [unrolled: 1-line block ×4, first 2 shown]
	v_add_f64_e64 v[18:19], v[30:31], -v[42:43]
	v_add_f64_e64 v[20:21], v[32:33], -v[46:47]
	v_fmac_f64_e32 v[56:57], v[38:39], v[24:25]
	v_fmac_f64_e32 v[58:59], v[40:41], v[24:25]
	v_mul_f64_e64 v[34:35], v[6:7], -v[2:3]
	v_fma_f64 v[6:7], -v[14:15], v[22:23], v[8:9]
	v_fma_f64 v[8:9], -v[16:17], v[22:23], v[26:27]
	;; [unrolled: 1-line block ×3, first 2 shown]
	v_add_f64_e64 v[30:31], v[10:11], -v[48:49]
	v_add_f64_e64 v[32:33], v[12:13], -v[50:51]
	;; [unrolled: 1-line block ×4, first 2 shown]
	v_fma_f64 v[4:5], -v[4:5], v[24:25], v[34:35]
	v_add_f64_e64 v[14:15], v[30:31], -v[56:57]
	v_add_f64_e64 v[16:17], v[32:33], -v[58:59]
	s_clause 0x3
	global_store_b128 v0, v[10:13], s[4:5] scale_offset
	global_store_b128 v0, v[6:9], s[2:3] scale_offset
	;; [unrolled: 1-line block ×4, first 2 shown]
.LBB82_2:
	s_endpgm
	.section	.rodata,"a",@progbits
	.p2align	6, 0x0
	.amdhsa_kernel _ZN9rocsparseL44gtsv_nopivot_strided_batch_pcr_stage1_kernelILj256E21rocsparse_complex_numIdEEEviiiiPKT0_S5_S5_S5_PS3_S6_S6_S6_
		.amdhsa_group_segment_fixed_size 0
		.amdhsa_private_segment_fixed_size 0
		.amdhsa_kernarg_size 80
		.amdhsa_user_sgpr_count 2
		.amdhsa_user_sgpr_dispatch_ptr 0
		.amdhsa_user_sgpr_queue_ptr 0
		.amdhsa_user_sgpr_kernarg_segment_ptr 1
		.amdhsa_user_sgpr_dispatch_id 0
		.amdhsa_user_sgpr_kernarg_preload_length 0
		.amdhsa_user_sgpr_kernarg_preload_offset 0
		.amdhsa_user_sgpr_private_segment_size 0
		.amdhsa_wavefront_size32 1
		.amdhsa_uses_dynamic_stack 0
		.amdhsa_enable_private_segment 0
		.amdhsa_system_sgpr_workgroup_id_x 1
		.amdhsa_system_sgpr_workgroup_id_y 1
		.amdhsa_system_sgpr_workgroup_id_z 0
		.amdhsa_system_sgpr_workgroup_info 0
		.amdhsa_system_vgpr_workitem_id 0
		.amdhsa_next_free_vgpr 63
		.amdhsa_next_free_sgpr 16
		.amdhsa_named_barrier_count 0
		.amdhsa_reserve_vcc 1
		.amdhsa_float_round_mode_32 0
		.amdhsa_float_round_mode_16_64 0
		.amdhsa_float_denorm_mode_32 3
		.amdhsa_float_denorm_mode_16_64 3
		.amdhsa_fp16_overflow 0
		.amdhsa_memory_ordered 1
		.amdhsa_forward_progress 1
		.amdhsa_inst_pref_size 8
		.amdhsa_round_robin_scheduling 0
		.amdhsa_exception_fp_ieee_invalid_op 0
		.amdhsa_exception_fp_denorm_src 0
		.amdhsa_exception_fp_ieee_div_zero 0
		.amdhsa_exception_fp_ieee_overflow 0
		.amdhsa_exception_fp_ieee_underflow 0
		.amdhsa_exception_fp_ieee_inexact 0
		.amdhsa_exception_int_div_zero 0
	.end_amdhsa_kernel
	.section	.text._ZN9rocsparseL44gtsv_nopivot_strided_batch_pcr_stage1_kernelILj256E21rocsparse_complex_numIdEEEviiiiPKT0_S5_S5_S5_PS3_S6_S6_S6_,"axG",@progbits,_ZN9rocsparseL44gtsv_nopivot_strided_batch_pcr_stage1_kernelILj256E21rocsparse_complex_numIdEEEviiiiPKT0_S5_S5_S5_PS3_S6_S6_S6_,comdat
.Lfunc_end82:
	.size	_ZN9rocsparseL44gtsv_nopivot_strided_batch_pcr_stage1_kernelILj256E21rocsparse_complex_numIdEEEviiiiPKT0_S5_S5_S5_PS3_S6_S6_S6_, .Lfunc_end82-_ZN9rocsparseL44gtsv_nopivot_strided_batch_pcr_stage1_kernelILj256E21rocsparse_complex_numIdEEEviiiiPKT0_S5_S5_S5_PS3_S6_S6_S6_
                                        ; -- End function
	.set _ZN9rocsparseL44gtsv_nopivot_strided_batch_pcr_stage1_kernelILj256E21rocsparse_complex_numIdEEEviiiiPKT0_S5_S5_S5_PS3_S6_S6_S6_.num_vgpr, 63
	.set _ZN9rocsparseL44gtsv_nopivot_strided_batch_pcr_stage1_kernelILj256E21rocsparse_complex_numIdEEEviiiiPKT0_S5_S5_S5_PS3_S6_S6_S6_.num_agpr, 0
	.set _ZN9rocsparseL44gtsv_nopivot_strided_batch_pcr_stage1_kernelILj256E21rocsparse_complex_numIdEEEviiiiPKT0_S5_S5_S5_PS3_S6_S6_S6_.numbered_sgpr, 16
	.set _ZN9rocsparseL44gtsv_nopivot_strided_batch_pcr_stage1_kernelILj256E21rocsparse_complex_numIdEEEviiiiPKT0_S5_S5_S5_PS3_S6_S6_S6_.num_named_barrier, 0
	.set _ZN9rocsparseL44gtsv_nopivot_strided_batch_pcr_stage1_kernelILj256E21rocsparse_complex_numIdEEEviiiiPKT0_S5_S5_S5_PS3_S6_S6_S6_.private_seg_size, 0
	.set _ZN9rocsparseL44gtsv_nopivot_strided_batch_pcr_stage1_kernelILj256E21rocsparse_complex_numIdEEEviiiiPKT0_S5_S5_S5_PS3_S6_S6_S6_.uses_vcc, 1
	.set _ZN9rocsparseL44gtsv_nopivot_strided_batch_pcr_stage1_kernelILj256E21rocsparse_complex_numIdEEEviiiiPKT0_S5_S5_S5_PS3_S6_S6_S6_.uses_flat_scratch, 0
	.set _ZN9rocsparseL44gtsv_nopivot_strided_batch_pcr_stage1_kernelILj256E21rocsparse_complex_numIdEEEviiiiPKT0_S5_S5_S5_PS3_S6_S6_S6_.has_dyn_sized_stack, 0
	.set _ZN9rocsparseL44gtsv_nopivot_strided_batch_pcr_stage1_kernelILj256E21rocsparse_complex_numIdEEEviiiiPKT0_S5_S5_S5_PS3_S6_S6_S6_.has_recursion, 0
	.set _ZN9rocsparseL44gtsv_nopivot_strided_batch_pcr_stage1_kernelILj256E21rocsparse_complex_numIdEEEviiiiPKT0_S5_S5_S5_PS3_S6_S6_S6_.has_indirect_call, 0
	.section	.AMDGPU.csdata,"",@progbits
; Kernel info:
; codeLenInByte = 968
; TotalNumSgprs: 18
; NumVgprs: 63
; ScratchSize: 0
; MemoryBound: 0
; FloatMode: 240
; IeeeMode: 1
; LDSByteSize: 0 bytes/workgroup (compile time only)
; SGPRBlocks: 0
; VGPRBlocks: 3
; NumSGPRsForWavesPerEU: 18
; NumVGPRsForWavesPerEU: 63
; NamedBarCnt: 0
; Occupancy: 16
; WaveLimiterHint : 0
; COMPUTE_PGM_RSRC2:SCRATCH_EN: 0
; COMPUTE_PGM_RSRC2:USER_SGPR: 2
; COMPUTE_PGM_RSRC2:TRAP_HANDLER: 0
; COMPUTE_PGM_RSRC2:TGID_X_EN: 1
; COMPUTE_PGM_RSRC2:TGID_Y_EN: 1
; COMPUTE_PGM_RSRC2:TGID_Z_EN: 0
; COMPUTE_PGM_RSRC2:TIDIG_COMP_CNT: 0
	.section	.text._ZN9rocsparseL44gtsv_nopivot_strided_batch_pcr_stage2_kernelILj512E21rocsparse_complex_numIdEEEviiiPKT0_S5_S5_S5_PS3_,"axG",@progbits,_ZN9rocsparseL44gtsv_nopivot_strided_batch_pcr_stage2_kernelILj512E21rocsparse_complex_numIdEEEviiiPKT0_S5_S5_S5_PS3_,comdat
	.globl	_ZN9rocsparseL44gtsv_nopivot_strided_batch_pcr_stage2_kernelILj512E21rocsparse_complex_numIdEEEviiiPKT0_S5_S5_S5_PS3_ ; -- Begin function _ZN9rocsparseL44gtsv_nopivot_strided_batch_pcr_stage2_kernelILj512E21rocsparse_complex_numIdEEEviiiPKT0_S5_S5_S5_PS3_
	.p2align	8
	.type	_ZN9rocsparseL44gtsv_nopivot_strided_batch_pcr_stage2_kernelILj512E21rocsparse_complex_numIdEEEviiiPKT0_S5_S5_S5_PS3_,@function
_ZN9rocsparseL44gtsv_nopivot_strided_batch_pcr_stage2_kernelILj512E21rocsparse_complex_numIdEEEviiiPKT0_S5_S5_S5_PS3_: ; @_ZN9rocsparseL44gtsv_nopivot_strided_batch_pcr_stage2_kernelILj512E21rocsparse_complex_numIdEEEviiiPKT0_S5_S5_S5_PS3_
; %bb.0:
	s_clause 0x1
	s_load_b96 s[4:6], s[0:1], 0x30
	s_load_b32 s16, s[0:1], 0x0
	s_bfe_u32 s3, ttmp6, 0x4000c
	s_bfe_u32 s7, ttmp6, 0x40010
	s_add_co_i32 s3, s3, 1
	s_add_co_i32 s7, s7, 1
	s_and_b32 s2, ttmp6, 15
	s_bfe_u32 s8, ttmp6, 0x40004
	s_mul_i32 s3, ttmp9, s3
	s_mul_i32 s7, ttmp7, s7
	s_getreg_b32 s9, hwreg(HW_REG_IB_STS2, 6, 4)
	s_add_co_i32 s2, s2, s3
	s_add_co_i32 s3, s8, s7
	s_cmp_eq_u32 s9, 0
	s_load_b256 s[8:15], s[0:1], 0x10
	s_cselect_b32 s2, ttmp9, s2
	s_cselect_b32 s7, ttmp7, s3
	s_wait_kmcnt 0x0
	v_mad_u32 v1, s6, v0, s2
	s_mul_i32 s3, s16, s7
	s_add_co_i32 s2, s16, s2
	s_delay_alu instid0(SALU_CYCLE_1) | instskip(NEXT) | instid1(VALU_DEP_1)
	s_add_co_i32 s2, s2, s3
	v_add_nc_u32_e32 v2, s3, v1
	s_sub_co_i32 s3, s2, s6
	v_cmp_gt_i32_e64 s2, s16, v1
	s_mov_b32 s6, 1
	v_cndmask_b32_e64 v2, s3, v2, s2
	s_clause 0x3
	global_load_b128 v[6:9], v2, s[8:9] scale_offset
	global_load_b128 v[10:13], v2, s[10:11] scale_offset
	;; [unrolled: 1-line block ×4, first 2 shown]
	s_wait_xcnt 0x0
	v_lshlrev_b32_e32 v2, 4, v0
	s_mov_b32 s8, 8
	s_delay_alu instid0(VALU_DEP_1)
	v_or_b32_e32 v5, 0x2000, v2
	v_or_b32_e32 v4, 0x4000, v2
	;; [unrolled: 1-line block ×3, first 2 shown]
	s_wait_loadcnt 0x3
	ds_store_2addr_b64 v2, v[6:7], v[8:9] offset1:1
	s_wait_loadcnt 0x2
	ds_store_2addr_b64 v5, v[10:11], v[12:13] offset1:1
	;; [unrolled: 2-line block ×4, first 2 shown]
	s_wait_dscnt 0x0
	s_barrier_signal -1
	s_barrier_wait -1
.LBB83_1:                               ; =>This Inner Loop Header: Depth=1
	v_subrev_nc_u32_e32 v6, s6, v0
	v_add_min_u32_e64 v10, s6, v0, 0x1ff
	s_add_co_i32 s8, s8, -1
	s_lshl_b32 s6, s6, 1
	s_cmp_eq_u32 s8, 0
	v_max_i32_e32 v6, 0, v6
	v_lshlrev_b32_e32 v57, 4, v10
	s_delay_alu instid0(VALU_DEP_2)
	v_lshlrev_b32_e32 v56, 4, v6
	ds_load_b128 v[6:9], v56 offset:8192
	ds_load_b128 v[10:13], v56 offset:16384
	;; [unrolled: 1-line block ×4, first 2 shown]
	s_wait_dscnt 0x3
	v_mul_f64_e32 v[38:39], v[8:9], v[8:9]
	s_wait_dscnt 0x1
	v_mul_f64_e32 v[40:41], v[16:17], v[16:17]
	s_delay_alu instid0(VALU_DEP_2) | instskip(NEXT) | instid1(VALU_DEP_2)
	v_fmac_f64_e32 v[38:39], v[6:7], v[6:7]
	v_fmac_f64_e32 v[40:41], v[14:15], v[14:15]
	s_delay_alu instid0(VALU_DEP_2) | instskip(NEXT) | instid1(VALU_DEP_2)
	v_div_scale_f64 v[22:23], null, v[38:39], v[38:39], 1.0
	v_div_scale_f64 v[30:31], null, v[40:41], v[40:41], 1.0
	v_div_scale_f64 v[34:35], s3, 1.0, v[40:41], 1.0
	s_delay_alu instid0(VALU_DEP_3) | instskip(NEXT) | instid1(VALU_DEP_2)
	v_rcp_f64_e32 v[32:33], v[22:23]
	v_rcp_f64_e32 v[42:43], v[30:31]
	s_delay_alu instid0(TRANS32_DEP_2) | instskip(NEXT) | instid1(TRANS32_DEP_1)
	v_fma_f64 v[24:25], -v[22:23], v[32:33], 1.0
	v_fma_f64 v[26:27], -v[30:31], v[42:43], 1.0
	s_delay_alu instid0(VALU_DEP_2) | instskip(NEXT) | instid1(VALU_DEP_2)
	v_fmac_f64_e32 v[32:33], v[32:33], v[24:25]
	v_fmac_f64_e32 v[42:43], v[42:43], v[26:27]
	v_div_scale_f64 v[26:27], vcc_lo, 1.0, v[38:39], 1.0
	s_delay_alu instid0(VALU_DEP_3) | instskip(NEXT) | instid1(VALU_DEP_3)
	v_fma_f64 v[24:25], -v[22:23], v[32:33], 1.0
	v_fma_f64 v[28:29], -v[30:31], v[42:43], 1.0
	s_delay_alu instid0(VALU_DEP_2) | instskip(NEXT) | instid1(VALU_DEP_2)
	v_fmac_f64_e32 v[32:33], v[32:33], v[24:25]
	v_fmac_f64_e32 v[42:43], v[42:43], v[28:29]
	s_delay_alu instid0(VALU_DEP_2) | instskip(NEXT) | instid1(VALU_DEP_2)
	v_mul_f64_e32 v[36:37], v[26:27], v[32:33]
	v_mul_f64_e32 v[44:45], v[34:35], v[42:43]
	s_delay_alu instid0(VALU_DEP_2)
	v_fma_f64 v[46:47], -v[22:23], v[36:37], v[26:27]
	ds_load_b128 v[22:25], v2
	ds_load_b128 v[26:29], v5
	v_fma_f64 v[50:51], -v[30:31], v[44:45], v[34:35]
	s_wait_dscnt 0x1
	v_mul_f64_e64 v[48:49], v[8:9], -v[22:23]
	v_mul_f64_e32 v[54:55], v[8:9], v[24:25]
	v_div_fmas_f64 v[46:47], v[46:47], v[32:33], v[36:37]
	ds_load_b128 v[30:33], v4
	ds_load_b128 v[34:37], v3
	s_mov_b32 vcc_lo, s3
	v_div_fmas_f64 v[8:9], v[50:51], v[42:43], v[44:45]
	s_wait_dscnt 0x1
	v_mul_f64_e64 v[52:53], v[16:17], -v[30:31]
	v_fmac_f64_e32 v[48:49], v[24:25], v[6:7]
	v_mul_f64_e32 v[44:45], v[16:17], v[32:33]
	v_fmac_f64_e32 v[54:55], v[22:23], v[6:7]
	v_div_fixup_f64 v[42:43], v[46:47], v[38:39], 1.0
	v_fmac_f64_e32 v[52:53], v[32:33], v[14:15]
	v_div_fixup_f64 v[32:33], v[8:9], v[40:41], 1.0
	ds_load_b128 v[6:9], v56 offset:32768
	ds_load_b128 v[22:25], v57
	ds_load_b128 v[38:41], v56
	v_fmac_f64_e32 v[44:45], v[30:31], v[14:15]
	ds_load_b128 v[14:17], v57 offset:32768
	s_wait_dscnt 0x0
	s_barrier_signal -1
	s_barrier_wait -1
	v_mul_f64_e32 v[46:47], v[42:43], v[48:49]
	v_mul_f64_e32 v[30:31], v[42:43], v[54:55]
	;; [unrolled: 1-line block ×4, first 2 shown]
	s_delay_alu instid0(VALU_DEP_4)
	v_mul_f64_e64 v[48:49], v[46:47], -v[12:13]
	v_mul_f64_e32 v[50:51], v[46:47], v[10:11]
	v_mul_f64_e64 v[52:53], v[46:47], -v[8:9]
	v_mul_f64_e32 v[54:55], v[46:47], v[6:7]
	;; [unrolled: 2-line block ×4, first 2 shown]
	v_fmac_f64_e32 v[48:49], v[10:11], v[30:31]
	v_fmac_f64_e32 v[50:51], v[12:13], v[30:31]
	;; [unrolled: 1-line block ×4, first 2 shown]
	v_mul_f64_e32 v[6:7], v[46:47], v[40:41]
	v_mul_f64_e64 v[8:9], v[46:47], -v[38:39]
	v_mul_f64_e32 v[10:11], v[42:43], v[20:21]
	v_mul_f64_e64 v[12:13], v[42:43], -v[18:19]
	v_fmac_f64_e32 v[44:45], v[22:23], v[32:33]
	v_fmac_f64_e32 v[56:57], v[24:25], v[32:33]
	;; [unrolled: 1-line block ×4, first 2 shown]
	v_add_f64_e64 v[14:15], v[26:27], -v[48:49]
	v_add_f64_e64 v[16:17], v[28:29], -v[50:51]
	;; [unrolled: 1-line block ×4, first 2 shown]
	v_fma_f64 v[6:7], -v[38:39], v[30:31], v[6:7]
	v_fma_f64 v[8:9], -v[40:41], v[30:31], v[8:9]
	v_fma_f64 v[10:11], -v[18:19], v[32:33], v[10:11]
	v_fma_f64 v[12:13], -v[20:21], v[32:33], v[12:13]
	v_add_f64_e64 v[14:15], v[14:15], -v[44:45]
	v_add_f64_e64 v[16:17], v[16:17], -v[56:57]
	;; [unrolled: 1-line block ×4, first 2 shown]
	ds_store_b128 v5, v[14:17]
	ds_store_b128 v2, v[6:9]
	;; [unrolled: 1-line block ×4, first 2 shown]
	s_wait_dscnt 0x0
	s_barrier_signal -1
	s_barrier_wait -1
	s_cbranch_scc0 .LBB83_1
; %bb.2:
	s_mov_b32 s3, exec_lo
	v_cmpx_gt_u32_e32 0x100, v0
	s_cbranch_execz .LBB83_4
; %bb.3:
	ds_load_b128 v[6:9], v5
	ds_load_b128 v[10:13], v2 offset:4096
	ds_load_b128 v[14:17], v5 offset:4096
	ds_load_b128 v[18:21], v4
	s_wait_dscnt 0x1
	v_mul_f64_e32 v[4:5], v[8:9], v[14:15]
	s_wait_dscnt 0x0
	v_mul_f64_e32 v[22:23], v[12:13], v[18:19]
	v_mul_f64_e64 v[24:25], v[8:9], -v[16:17]
	v_mul_f64_e64 v[26:27], v[12:13], -v[20:21]
	s_delay_alu instid0(VALU_DEP_4) | instskip(NEXT) | instid1(VALU_DEP_4)
	v_fmac_f64_e32 v[4:5], v[16:17], v[6:7]
	v_fmac_f64_e32 v[22:23], v[20:21], v[10:11]
	s_delay_alu instid0(VALU_DEP_4) | instskip(NEXT) | instid1(VALU_DEP_4)
	v_fmac_f64_e32 v[24:25], v[14:15], v[6:7]
	v_fmac_f64_e32 v[26:27], v[18:19], v[10:11]
	s_delay_alu instid0(VALU_DEP_3) | instskip(NEXT) | instid1(VALU_DEP_2)
	v_add_f64_e64 v[4:5], v[4:5], -v[22:23]
	v_add_f64_e64 v[30:31], v[24:25], -v[26:27]
	s_delay_alu instid0(VALU_DEP_2) | instskip(NEXT) | instid1(VALU_DEP_1)
	v_mul_f64_e32 v[32:33], v[4:5], v[4:5]
	v_fmac_f64_e32 v[32:33], v[30:31], v[30:31]
	s_delay_alu instid0(VALU_DEP_1) | instskip(SKIP_1) | instid1(VALU_DEP_2)
	v_div_scale_f64 v[22:23], null, v[32:33], v[32:33], 1.0
	v_div_scale_f64 v[26:27], vcc_lo, 1.0, v[32:33], 1.0
	v_rcp_f64_e32 v[34:35], v[22:23]
	v_nop
	s_delay_alu instid0(TRANS32_DEP_1) | instskip(NEXT) | instid1(VALU_DEP_1)
	v_fma_f64 v[24:25], -v[22:23], v[34:35], 1.0
	v_fmac_f64_e32 v[34:35], v[34:35], v[24:25]
	s_delay_alu instid0(VALU_DEP_1) | instskip(NEXT) | instid1(VALU_DEP_1)
	v_fma_f64 v[24:25], -v[22:23], v[34:35], 1.0
	v_fmac_f64_e32 v[34:35], v[34:35], v[24:25]
	s_delay_alu instid0(VALU_DEP_1) | instskip(NEXT) | instid1(VALU_DEP_1)
	v_mul_f64_e32 v[36:37], v[26:27], v[34:35]
	v_fma_f64 v[38:39], -v[22:23], v[36:37], v[26:27]
	ds_load_b128 v[22:25], v3
	ds_load_b128 v[26:29], v3 offset:4096
	s_wait_dscnt 0x1
	v_mul_f64_e64 v[40:41], v[24:25], -v[16:17]
	v_mul_f64_e32 v[42:43], v[14:15], v[24:25]
	s_wait_dscnt 0x0
	v_mul_f64_e64 v[44:45], v[28:29], -v[20:21]
	v_mul_f64_e32 v[46:47], v[18:19], v[28:29]
	v_mul_f64_e64 v[48:49], v[8:9], -v[28:29]
	v_mul_f64_e32 v[8:9], v[8:9], v[26:27]
	v_div_fmas_f64 v[34:35], v[38:39], v[34:35], v[36:37]
	v_mul_f64_e32 v[36:37], v[12:13], v[22:23]
	v_mul_f64_e64 v[12:13], v[12:13], -v[24:25]
	v_fmac_f64_e32 v[40:41], v[14:15], v[22:23]
	v_fmac_f64_e32 v[42:43], v[16:17], v[22:23]
	;; [unrolled: 1-line block ×4, first 2 shown]
	v_fma_f64 v[14:15], v[30:31], 0, -v[4:5]
	v_fmac_f64_e32 v[48:49], v[26:27], v[6:7]
	v_fmac_f64_e32 v[8:9], v[28:29], v[6:7]
	v_fma_f64 v[4:5], 0, v[4:5], v[30:31]
	v_div_fixup_f64 v[16:17], v[34:35], v[32:33], 1.0
	v_fmac_f64_e32 v[36:37], v[24:25], v[10:11]
	v_fmac_f64_e32 v[12:13], v[22:23], v[10:11]
	v_add_f64_e64 v[18:19], v[42:43], -v[46:47]
	s_delay_alu instid0(VALU_DEP_4)
	v_mul_f64_e32 v[10:11], v[14:15], v[16:17]
	v_add_f64_e64 v[14:15], v[40:41], -v[44:45]
	v_add_f64_e64 v[20:21], v[8:9], -v[36:37]
	;; [unrolled: 1-line block ×3, first 2 shown]
	v_mul_f64_e32 v[16:17], v[4:5], v[16:17]
	v_mul_f64_e64 v[4:5], v[10:11], -v[18:19]
	v_mul_f64_e32 v[6:7], v[10:11], v[14:15]
	v_mul_f64_e64 v[8:9], v[10:11], -v[20:21]
	v_mul_f64_e32 v[10:11], v[10:11], v[12:13]
	s_delay_alu instid0(VALU_DEP_4) | instskip(NEXT) | instid1(VALU_DEP_4)
	v_fmac_f64_e32 v[4:5], v[14:15], v[16:17]
	v_fmac_f64_e32 v[6:7], v[18:19], v[16:17]
	s_delay_alu instid0(VALU_DEP_4) | instskip(NEXT) | instid1(VALU_DEP_4)
	v_fmac_f64_e32 v[8:9], v[12:13], v[16:17]
	v_fmac_f64_e32 v[10:11], v[20:21], v[16:17]
	ds_store_b128 v2, v[4:7] offset:24576
	ds_store_b128 v2, v[8:11] offset:28672
.LBB83_4:
	s_or_b32 exec_lo, exec_lo, s3
	s_wait_dscnt 0x0
	s_barrier_signal -1
	s_barrier_wait -1
	s_and_saveexec_b32 s3, s2
	s_cbranch_execz .LBB83_6
; %bb.5:
	s_load_b32 s0, s[0:1], 0x8
	v_lshl_or_b32 v0, v0, 4, 0x6000
	ds_load_2addr_b64 v[2:5], v0 offset1:1
	s_wait_kmcnt 0x0
	v_mad_u32 v0, s0, s7, v1
	s_wait_dscnt 0x0
	global_store_b128 v0, v[2:5], s[4:5] scale_offset
.LBB83_6:
	s_endpgm
	.section	.rodata,"a",@progbits
	.p2align	6, 0x0
	.amdhsa_kernel _ZN9rocsparseL44gtsv_nopivot_strided_batch_pcr_stage2_kernelILj512E21rocsparse_complex_numIdEEEviiiPKT0_S5_S5_S5_PS3_
		.amdhsa_group_segment_fixed_size 40960
		.amdhsa_private_segment_fixed_size 0
		.amdhsa_kernarg_size 312
		.amdhsa_user_sgpr_count 2
		.amdhsa_user_sgpr_dispatch_ptr 0
		.amdhsa_user_sgpr_queue_ptr 0
		.amdhsa_user_sgpr_kernarg_segment_ptr 1
		.amdhsa_user_sgpr_dispatch_id 0
		.amdhsa_user_sgpr_kernarg_preload_length 0
		.amdhsa_user_sgpr_kernarg_preload_offset 0
		.amdhsa_user_sgpr_private_segment_size 0
		.amdhsa_wavefront_size32 1
		.amdhsa_uses_dynamic_stack 0
		.amdhsa_enable_private_segment 0
		.amdhsa_system_sgpr_workgroup_id_x 1
		.amdhsa_system_sgpr_workgroup_id_y 1
		.amdhsa_system_sgpr_workgroup_id_z 0
		.amdhsa_system_sgpr_workgroup_info 0
		.amdhsa_system_vgpr_workitem_id 0
		.amdhsa_next_free_vgpr 62
		.amdhsa_next_free_sgpr 17
		.amdhsa_named_barrier_count 0
		.amdhsa_reserve_vcc 1
		.amdhsa_float_round_mode_32 0
		.amdhsa_float_round_mode_16_64 0
		.amdhsa_float_denorm_mode_32 3
		.amdhsa_float_denorm_mode_16_64 3
		.amdhsa_fp16_overflow 0
		.amdhsa_memory_ordered 1
		.amdhsa_forward_progress 1
		.amdhsa_inst_pref_size 12
		.amdhsa_round_robin_scheduling 0
		.amdhsa_exception_fp_ieee_invalid_op 0
		.amdhsa_exception_fp_denorm_src 0
		.amdhsa_exception_fp_ieee_div_zero 0
		.amdhsa_exception_fp_ieee_overflow 0
		.amdhsa_exception_fp_ieee_underflow 0
		.amdhsa_exception_fp_ieee_inexact 0
		.amdhsa_exception_int_div_zero 0
	.end_amdhsa_kernel
	.section	.text._ZN9rocsparseL44gtsv_nopivot_strided_batch_pcr_stage2_kernelILj512E21rocsparse_complex_numIdEEEviiiPKT0_S5_S5_S5_PS3_,"axG",@progbits,_ZN9rocsparseL44gtsv_nopivot_strided_batch_pcr_stage2_kernelILj512E21rocsparse_complex_numIdEEEviiiPKT0_S5_S5_S5_PS3_,comdat
.Lfunc_end83:
	.size	_ZN9rocsparseL44gtsv_nopivot_strided_batch_pcr_stage2_kernelILj512E21rocsparse_complex_numIdEEEviiiPKT0_S5_S5_S5_PS3_, .Lfunc_end83-_ZN9rocsparseL44gtsv_nopivot_strided_batch_pcr_stage2_kernelILj512E21rocsparse_complex_numIdEEEviiiPKT0_S5_S5_S5_PS3_
                                        ; -- End function
	.set _ZN9rocsparseL44gtsv_nopivot_strided_batch_pcr_stage2_kernelILj512E21rocsparse_complex_numIdEEEviiiPKT0_S5_S5_S5_PS3_.num_vgpr, 62
	.set _ZN9rocsparseL44gtsv_nopivot_strided_batch_pcr_stage2_kernelILj512E21rocsparse_complex_numIdEEEviiiPKT0_S5_S5_S5_PS3_.num_agpr, 0
	.set _ZN9rocsparseL44gtsv_nopivot_strided_batch_pcr_stage2_kernelILj512E21rocsparse_complex_numIdEEEviiiPKT0_S5_S5_S5_PS3_.numbered_sgpr, 17
	.set _ZN9rocsparseL44gtsv_nopivot_strided_batch_pcr_stage2_kernelILj512E21rocsparse_complex_numIdEEEviiiPKT0_S5_S5_S5_PS3_.num_named_barrier, 0
	.set _ZN9rocsparseL44gtsv_nopivot_strided_batch_pcr_stage2_kernelILj512E21rocsparse_complex_numIdEEEviiiPKT0_S5_S5_S5_PS3_.private_seg_size, 0
	.set _ZN9rocsparseL44gtsv_nopivot_strided_batch_pcr_stage2_kernelILj512E21rocsparse_complex_numIdEEEviiiPKT0_S5_S5_S5_PS3_.uses_vcc, 1
	.set _ZN9rocsparseL44gtsv_nopivot_strided_batch_pcr_stage2_kernelILj512E21rocsparse_complex_numIdEEEviiiPKT0_S5_S5_S5_PS3_.uses_flat_scratch, 0
	.set _ZN9rocsparseL44gtsv_nopivot_strided_batch_pcr_stage2_kernelILj512E21rocsparse_complex_numIdEEEviiiPKT0_S5_S5_S5_PS3_.has_dyn_sized_stack, 0
	.set _ZN9rocsparseL44gtsv_nopivot_strided_batch_pcr_stage2_kernelILj512E21rocsparse_complex_numIdEEEviiiPKT0_S5_S5_S5_PS3_.has_recursion, 0
	.set _ZN9rocsparseL44gtsv_nopivot_strided_batch_pcr_stage2_kernelILj512E21rocsparse_complex_numIdEEEviiiPKT0_S5_S5_S5_PS3_.has_indirect_call, 0
	.section	.AMDGPU.csdata,"",@progbits
; Kernel info:
; codeLenInByte = 1520
; TotalNumSgprs: 19
; NumVgprs: 62
; ScratchSize: 0
; MemoryBound: 0
; FloatMode: 240
; IeeeMode: 1
; LDSByteSize: 40960 bytes/workgroup (compile time only)
; SGPRBlocks: 0
; VGPRBlocks: 3
; NumSGPRsForWavesPerEU: 19
; NumVGPRsForWavesPerEU: 62
; NamedBarCnt: 0
; Occupancy: 16
; WaveLimiterHint : 0
; COMPUTE_PGM_RSRC2:SCRATCH_EN: 0
; COMPUTE_PGM_RSRC2:USER_SGPR: 2
; COMPUTE_PGM_RSRC2:TRAP_HANDLER: 0
; COMPUTE_PGM_RSRC2:TGID_X_EN: 1
; COMPUTE_PGM_RSRC2:TGID_Y_EN: 1
; COMPUTE_PGM_RSRC2:TGID_Z_EN: 0
; COMPUTE_PGM_RSRC2:TIDIG_COMP_CNT: 0
	.section	.AMDGPU.gpr_maximums,"",@progbits
	.set amdgpu.max_num_vgpr, 0
	.set amdgpu.max_num_agpr, 0
	.set amdgpu.max_num_sgpr, 0
	.section	.AMDGPU.csdata,"",@progbits
	.type	__hip_cuid_fee5eab7b19da73a,@object ; @__hip_cuid_fee5eab7b19da73a
	.section	.bss,"aw",@nobits
	.globl	__hip_cuid_fee5eab7b19da73a
__hip_cuid_fee5eab7b19da73a:
	.byte	0                               ; 0x0
	.size	__hip_cuid_fee5eab7b19da73a, 1

	.ident	"AMD clang version 22.0.0git (https://github.com/RadeonOpenCompute/llvm-project roc-7.2.4 26084 f58b06dce1f9c15707c5f808fd002e18c2accf7e)"
	.section	".note.GNU-stack","",@progbits
	.addrsig
	.addrsig_sym __hip_cuid_fee5eab7b19da73a
	.amdgpu_metadata
---
amdhsa.kernels:
  - .args:
      - .offset:         0
        .size:           4
        .value_kind:     by_value
      - .offset:         4
        .size:           4
        .value_kind:     by_value
      - .offset:         8
        .size:           4
        .value_kind:     by_value
      - .actual_access:  read_only
        .address_space:  global
        .offset:         16
        .size:           8
        .value_kind:     global_buffer
      - .actual_access:  read_only
        .address_space:  global
        .offset:         24
        .size:           8
        .value_kind:     global_buffer
      - .actual_access:  read_only
        .address_space:  global
        .offset:         32
        .size:           8
        .value_kind:     global_buffer
      - .address_space:  global
        .offset:         40
        .size:           8
        .value_kind:     global_buffer
    .group_segment_fixed_size: 76
    .kernarg_segment_align: 8
    .kernarg_segment_size: 48
    .language:       OpenCL C
    .language_version:
      - 2
      - 0
    .max_flat_workgroup_size: 2
    .name:           _ZN9rocsparseL49gtsv_nopivot_strided_batch_pcr_pow2_shared_kernelILj2EfEEviiiPKT0_S3_S3_PS1_
    .private_segment_fixed_size: 0
    .sgpr_count:     14
    .sgpr_spill_count: 0
    .symbol:         _ZN9rocsparseL49gtsv_nopivot_strided_batch_pcr_pow2_shared_kernelILj2EfEEviiiPKT0_S3_S3_PS1_.kd
    .uniform_work_group_size: 1
    .uses_dynamic_stack: false
    .vgpr_count:     16
    .vgpr_spill_count: 0
    .wavefront_size: 32
  - .args:
      - .offset:         0
        .size:           4
        .value_kind:     by_value
      - .offset:         4
        .size:           4
        .value_kind:     by_value
      - .offset:         8
        .size:           4
        .value_kind:     by_value
      - .actual_access:  read_only
        .address_space:  global
        .offset:         16
        .size:           8
        .value_kind:     global_buffer
      - .actual_access:  read_only
        .address_space:  global
        .offset:         24
        .size:           8
        .value_kind:     global_buffer
      - .actual_access:  read_only
        .address_space:  global
        .offset:         32
        .size:           8
        .value_kind:     global_buffer
      - .address_space:  global
        .offset:         40
        .size:           8
        .value_kind:     global_buffer
    .group_segment_fixed_size: 148
    .kernarg_segment_align: 8
    .kernarg_segment_size: 48
    .language:       OpenCL C
    .language_version:
      - 2
      - 0
    .max_flat_workgroup_size: 4
    .name:           _ZN9rocsparseL49gtsv_nopivot_strided_batch_pcr_pow2_shared_kernelILj4EfEEviiiPKT0_S3_S3_PS1_
    .private_segment_fixed_size: 0
    .sgpr_count:     14
    .sgpr_spill_count: 0
    .symbol:         _ZN9rocsparseL49gtsv_nopivot_strided_batch_pcr_pow2_shared_kernelILj4EfEEviiiPKT0_S3_S3_PS1_.kd
    .uniform_work_group_size: 1
    .uses_dynamic_stack: false
    .vgpr_count:     24
    .vgpr_spill_count: 0
    .wavefront_size: 32
  - .args:
      - .offset:         0
        .size:           4
        .value_kind:     by_value
      - .offset:         4
        .size:           4
        .value_kind:     by_value
      - .offset:         8
        .size:           4
        .value_kind:     by_value
      - .actual_access:  read_only
        .address_space:  global
        .offset:         16
        .size:           8
        .value_kind:     global_buffer
      - .actual_access:  read_only
        .address_space:  global
        .offset:         24
        .size:           8
        .value_kind:     global_buffer
      - .actual_access:  read_only
        .address_space:  global
        .offset:         32
        .size:           8
        .value_kind:     global_buffer
      - .address_space:  global
        .offset:         40
        .size:           8
        .value_kind:     global_buffer
    .group_segment_fixed_size: 228
    .kernarg_segment_align: 8
    .kernarg_segment_size: 48
    .language:       OpenCL C
    .language_version:
      - 2
      - 0
    .max_flat_workgroup_size: 8
    .name:           _ZN9rocsparseL49gtsv_nopivot_strided_batch_pcr_pow2_shared_kernelILj8EfEEviiiPKT0_S3_S3_PS1_
    .private_segment_fixed_size: 0
    .sgpr_count:     14
    .sgpr_spill_count: 0
    .symbol:         _ZN9rocsparseL49gtsv_nopivot_strided_batch_pcr_pow2_shared_kernelILj8EfEEviiiPKT0_S3_S3_PS1_.kd
    .uniform_work_group_size: 1
    .uses_dynamic_stack: false
    .vgpr_count:     25
    .vgpr_spill_count: 0
    .wavefront_size: 32
  - .args:
      - .offset:         0
        .size:           4
        .value_kind:     by_value
      - .offset:         4
        .size:           4
        .value_kind:     by_value
      - .offset:         8
        .size:           4
        .value_kind:     by_value
      - .actual_access:  read_only
        .address_space:  global
        .offset:         16
        .size:           8
        .value_kind:     global_buffer
      - .actual_access:  read_only
        .address_space:  global
        .offset:         24
        .size:           8
        .value_kind:     global_buffer
      - .actual_access:  read_only
        .address_space:  global
        .offset:         32
        .size:           8
        .value_kind:     global_buffer
      - .address_space:  global
        .offset:         40
        .size:           8
        .value_kind:     global_buffer
    .group_segment_fixed_size: 388
    .kernarg_segment_align: 8
    .kernarg_segment_size: 48
    .language:       OpenCL C
    .language_version:
      - 2
      - 0
    .max_flat_workgroup_size: 16
    .name:           _ZN9rocsparseL49gtsv_nopivot_strided_batch_pcr_pow2_shared_kernelILj16EfEEviiiPKT0_S3_S3_PS1_
    .private_segment_fixed_size: 0
    .sgpr_count:     14
    .sgpr_spill_count: 0
    .symbol:         _ZN9rocsparseL49gtsv_nopivot_strided_batch_pcr_pow2_shared_kernelILj16EfEEviiiPKT0_S3_S3_PS1_.kd
    .uniform_work_group_size: 1
    .uses_dynamic_stack: false
    .vgpr_count:     25
    .vgpr_spill_count: 0
    .wavefront_size: 32
  - .args:
      - .offset:         0
        .size:           4
        .value_kind:     by_value
      - .offset:         4
        .size:           4
        .value_kind:     by_value
      - .offset:         8
        .size:           4
        .value_kind:     by_value
      - .actual_access:  read_only
        .address_space:  global
        .offset:         16
        .size:           8
        .value_kind:     global_buffer
      - .actual_access:  read_only
        .address_space:  global
        .offset:         24
        .size:           8
        .value_kind:     global_buffer
      - .actual_access:  read_only
        .address_space:  global
        .offset:         32
        .size:           8
        .value_kind:     global_buffer
      - .address_space:  global
        .offset:         40
        .size:           8
        .value_kind:     global_buffer
    .group_segment_fixed_size: 708
    .kernarg_segment_align: 8
    .kernarg_segment_size: 48
    .language:       OpenCL C
    .language_version:
      - 2
      - 0
    .max_flat_workgroup_size: 32
    .name:           _ZN9rocsparseL49gtsv_nopivot_strided_batch_pcr_pow2_shared_kernelILj32EfEEviiiPKT0_S3_S3_PS1_
    .private_segment_fixed_size: 0
    .sgpr_count:     14
    .sgpr_spill_count: 0
    .symbol:         _ZN9rocsparseL49gtsv_nopivot_strided_batch_pcr_pow2_shared_kernelILj32EfEEviiiPKT0_S3_S3_PS1_.kd
    .uniform_work_group_size: 1
    .uses_dynamic_stack: false
    .vgpr_count:     25
    .vgpr_spill_count: 0
    .wavefront_size: 32
  - .args:
      - .offset:         0
        .size:           4
        .value_kind:     by_value
      - .offset:         4
        .size:           4
        .value_kind:     by_value
      - .offset:         8
        .size:           4
        .value_kind:     by_value
      - .actual_access:  read_only
        .address_space:  global
        .offset:         16
        .size:           8
        .value_kind:     global_buffer
      - .actual_access:  read_only
        .address_space:  global
        .offset:         24
        .size:           8
        .value_kind:     global_buffer
      - .actual_access:  read_only
        .address_space:  global
        .offset:         32
        .size:           8
        .value_kind:     global_buffer
      - .address_space:  global
        .offset:         40
        .size:           8
        .value_kind:     global_buffer
    .group_segment_fixed_size: 1348
    .kernarg_segment_align: 8
    .kernarg_segment_size: 48
    .language:       OpenCL C
    .language_version:
      - 2
      - 0
    .max_flat_workgroup_size: 64
    .name:           _ZN9rocsparseL49gtsv_nopivot_strided_batch_pcr_pow2_shared_kernelILj64EfEEviiiPKT0_S3_S3_PS1_
    .private_segment_fixed_size: 0
    .sgpr_count:     14
    .sgpr_spill_count: 0
    .symbol:         _ZN9rocsparseL49gtsv_nopivot_strided_batch_pcr_pow2_shared_kernelILj64EfEEviiiPKT0_S3_S3_PS1_.kd
    .uniform_work_group_size: 1
    .uses_dynamic_stack: false
    .vgpr_count:     26
    .vgpr_spill_count: 0
    .wavefront_size: 32
  - .args:
      - .offset:         0
        .size:           4
        .value_kind:     by_value
      - .offset:         4
        .size:           4
        .value_kind:     by_value
      - .offset:         8
        .size:           4
        .value_kind:     by_value
      - .actual_access:  read_only
        .address_space:  global
        .offset:         16
        .size:           8
        .value_kind:     global_buffer
      - .actual_access:  read_only
        .address_space:  global
        .offset:         24
        .size:           8
        .value_kind:     global_buffer
      - .actual_access:  read_only
        .address_space:  global
        .offset:         32
        .size:           8
        .value_kind:     global_buffer
      - .address_space:  global
        .offset:         40
        .size:           8
        .value_kind:     global_buffer
    .group_segment_fixed_size: 3840
    .kernarg_segment_align: 8
    .kernarg_segment_size: 48
    .language:       OpenCL C
    .language_version:
      - 2
      - 0
    .max_flat_workgroup_size: 64
    .name:           _ZN9rocsparseL51gtsv_nopivot_strided_batch_crpcr_pow2_shared_kernelILj64ELj64EfEEviiiPKT1_S3_S3_PS1_
    .private_segment_fixed_size: 0
    .sgpr_count:     15
    .sgpr_spill_count: 0
    .symbol:         _ZN9rocsparseL51gtsv_nopivot_strided_batch_crpcr_pow2_shared_kernelILj64ELj64EfEEviiiPKT1_S3_S3_PS1_.kd
    .uniform_work_group_size: 1
    .uses_dynamic_stack: false
    .vgpr_count:     36
    .vgpr_spill_count: 0
    .wavefront_size: 32
  - .args:
      - .offset:         0
        .size:           4
        .value_kind:     by_value
      - .offset:         4
        .size:           4
        .value_kind:     by_value
      - .offset:         8
        .size:           4
        .value_kind:     by_value
      - .actual_access:  read_only
        .address_space:  global
        .offset:         16
        .size:           8
        .value_kind:     global_buffer
      - .actual_access:  read_only
        .address_space:  global
        .offset:         24
        .size:           8
        .value_kind:     global_buffer
      - .actual_access:  read_only
        .address_space:  global
        .offset:         32
        .size:           8
        .value_kind:     global_buffer
      - .address_space:  global
        .offset:         40
        .size:           8
        .value_kind:     global_buffer
    .group_segment_fixed_size: 6400
    .kernarg_segment_align: 8
    .kernarg_segment_size: 48
    .language:       OpenCL C
    .language_version:
      - 2
      - 0
    .max_flat_workgroup_size: 128
    .name:           _ZN9rocsparseL51gtsv_nopivot_strided_batch_crpcr_pow2_shared_kernelILj128ELj64EfEEviiiPKT1_S3_S3_PS1_
    .private_segment_fixed_size: 0
    .sgpr_count:     15
    .sgpr_spill_count: 0
    .symbol:         _ZN9rocsparseL51gtsv_nopivot_strided_batch_crpcr_pow2_shared_kernelILj128ELj64EfEEviiiPKT1_S3_S3_PS1_.kd
    .uniform_work_group_size: 1
    .uses_dynamic_stack: false
    .vgpr_count:     30
    .vgpr_spill_count: 0
    .wavefront_size: 32
  - .args:
      - .offset:         0
        .size:           4
        .value_kind:     by_value
      - .offset:         4
        .size:           4
        .value_kind:     by_value
      - .offset:         8
        .size:           4
        .value_kind:     by_value
      - .actual_access:  read_only
        .address_space:  global
        .offset:         16
        .size:           8
        .value_kind:     global_buffer
      - .actual_access:  read_only
        .address_space:  global
        .offset:         24
        .size:           8
        .value_kind:     global_buffer
      - .actual_access:  read_only
        .address_space:  global
        .offset:         32
        .size:           8
        .value_kind:     global_buffer
      - .address_space:  global
        .offset:         40
        .size:           8
        .value_kind:     global_buffer
    .group_segment_fixed_size: 11520
    .kernarg_segment_align: 8
    .kernarg_segment_size: 48
    .language:       OpenCL C
    .language_version:
      - 2
      - 0
    .max_flat_workgroup_size: 256
    .name:           _ZN9rocsparseL51gtsv_nopivot_strided_batch_crpcr_pow2_shared_kernelILj256ELj64EfEEviiiPKT1_S3_S3_PS1_
    .private_segment_fixed_size: 0
    .sgpr_count:     15
    .sgpr_spill_count: 0
    .symbol:         _ZN9rocsparseL51gtsv_nopivot_strided_batch_crpcr_pow2_shared_kernelILj256ELj64EfEEviiiPKT1_S3_S3_PS1_.kd
    .uniform_work_group_size: 1
    .uses_dynamic_stack: false
    .vgpr_count:     30
    .vgpr_spill_count: 0
    .wavefront_size: 32
  - .args:
      - .offset:         0
        .size:           4
        .value_kind:     by_value
      - .offset:         4
        .size:           4
        .value_kind:     by_value
      - .offset:         8
        .size:           4
        .value_kind:     by_value
      - .actual_access:  read_only
        .address_space:  global
        .offset:         16
        .size:           8
        .value_kind:     global_buffer
      - .actual_access:  read_only
        .address_space:  global
        .offset:         24
        .size:           8
        .value_kind:     global_buffer
      - .actual_access:  read_only
        .address_space:  global
        .offset:         32
        .size:           8
        .value_kind:     global_buffer
      - .address_space:  global
        .offset:         40
        .size:           8
        .value_kind:     global_buffer
    .group_segment_fixed_size: 80
    .kernarg_segment_align: 8
    .kernarg_segment_size: 48
    .language:       OpenCL C
    .language_version:
      - 2
      - 0
    .max_flat_workgroup_size: 4
    .name:           _ZN9rocsparseL44gtsv_nopivot_strided_batch_pcr_shared_kernelILj4EfEEviiiPKT0_S3_S3_PS1_
    .private_segment_fixed_size: 0
    .sgpr_count:     10
    .sgpr_spill_count: 0
    .symbol:         _ZN9rocsparseL44gtsv_nopivot_strided_batch_pcr_shared_kernelILj4EfEEviiiPKT0_S3_S3_PS1_.kd
    .uniform_work_group_size: 1
    .uses_dynamic_stack: false
    .vgpr_count:     26
    .vgpr_spill_count: 0
    .wavefront_size: 32
  - .args:
      - .offset:         0
        .size:           4
        .value_kind:     by_value
      - .offset:         4
        .size:           4
        .value_kind:     by_value
      - .offset:         8
        .size:           4
        .value_kind:     by_value
      - .actual_access:  read_only
        .address_space:  global
        .offset:         16
        .size:           8
        .value_kind:     global_buffer
      - .actual_access:  read_only
        .address_space:  global
        .offset:         24
        .size:           8
        .value_kind:     global_buffer
      - .actual_access:  read_only
        .address_space:  global
        .offset:         32
        .size:           8
        .value_kind:     global_buffer
      - .address_space:  global
        .offset:         40
        .size:           8
        .value_kind:     global_buffer
    .group_segment_fixed_size: 160
    .kernarg_segment_align: 8
    .kernarg_segment_size: 48
    .language:       OpenCL C
    .language_version:
      - 2
      - 0
    .max_flat_workgroup_size: 8
    .name:           _ZN9rocsparseL44gtsv_nopivot_strided_batch_pcr_shared_kernelILj8EfEEviiiPKT0_S3_S3_PS1_
    .private_segment_fixed_size: 0
    .sgpr_count:     10
    .sgpr_spill_count: 0
    .symbol:         _ZN9rocsparseL44gtsv_nopivot_strided_batch_pcr_shared_kernelILj8EfEEviiiPKT0_S3_S3_PS1_.kd
    .uniform_work_group_size: 1
    .uses_dynamic_stack: false
    .vgpr_count:     27
    .vgpr_spill_count: 0
    .wavefront_size: 32
  - .args:
      - .offset:         0
        .size:           4
        .value_kind:     by_value
      - .offset:         4
        .size:           4
        .value_kind:     by_value
      - .offset:         8
        .size:           4
        .value_kind:     by_value
      - .actual_access:  read_only
        .address_space:  global
        .offset:         16
        .size:           8
        .value_kind:     global_buffer
      - .actual_access:  read_only
        .address_space:  global
        .offset:         24
        .size:           8
        .value_kind:     global_buffer
      - .actual_access:  read_only
        .address_space:  global
        .offset:         32
        .size:           8
        .value_kind:     global_buffer
      - .address_space:  global
        .offset:         40
        .size:           8
        .value_kind:     global_buffer
    .group_segment_fixed_size: 320
    .kernarg_segment_align: 8
    .kernarg_segment_size: 48
    .language:       OpenCL C
    .language_version:
      - 2
      - 0
    .max_flat_workgroup_size: 16
    .name:           _ZN9rocsparseL44gtsv_nopivot_strided_batch_pcr_shared_kernelILj16EfEEviiiPKT0_S3_S3_PS1_
    .private_segment_fixed_size: 0
    .sgpr_count:     10
    .sgpr_spill_count: 0
    .symbol:         _ZN9rocsparseL44gtsv_nopivot_strided_batch_pcr_shared_kernelILj16EfEEviiiPKT0_S3_S3_PS1_.kd
    .uniform_work_group_size: 1
    .uses_dynamic_stack: false
    .vgpr_count:     27
    .vgpr_spill_count: 0
    .wavefront_size: 32
  - .args:
      - .offset:         0
        .size:           4
        .value_kind:     by_value
      - .offset:         4
        .size:           4
        .value_kind:     by_value
      - .offset:         8
        .size:           4
        .value_kind:     by_value
      - .actual_access:  read_only
        .address_space:  global
        .offset:         16
        .size:           8
        .value_kind:     global_buffer
      - .actual_access:  read_only
        .address_space:  global
        .offset:         24
        .size:           8
        .value_kind:     global_buffer
      - .actual_access:  read_only
        .address_space:  global
        .offset:         32
        .size:           8
        .value_kind:     global_buffer
      - .address_space:  global
        .offset:         40
        .size:           8
        .value_kind:     global_buffer
    .group_segment_fixed_size: 640
    .kernarg_segment_align: 8
    .kernarg_segment_size: 48
    .language:       OpenCL C
    .language_version:
      - 2
      - 0
    .max_flat_workgroup_size: 32
    .name:           _ZN9rocsparseL44gtsv_nopivot_strided_batch_pcr_shared_kernelILj32EfEEviiiPKT0_S3_S3_PS1_
    .private_segment_fixed_size: 0
    .sgpr_count:     10
    .sgpr_spill_count: 0
    .symbol:         _ZN9rocsparseL44gtsv_nopivot_strided_batch_pcr_shared_kernelILj32EfEEviiiPKT0_S3_S3_PS1_.kd
    .uniform_work_group_size: 1
    .uses_dynamic_stack: false
    .vgpr_count:     27
    .vgpr_spill_count: 0
    .wavefront_size: 32
  - .args:
      - .offset:         0
        .size:           4
        .value_kind:     by_value
      - .offset:         4
        .size:           4
        .value_kind:     by_value
      - .offset:         8
        .size:           4
        .value_kind:     by_value
      - .actual_access:  read_only
        .address_space:  global
        .offset:         16
        .size:           8
        .value_kind:     global_buffer
      - .actual_access:  read_only
        .address_space:  global
        .offset:         24
        .size:           8
        .value_kind:     global_buffer
      - .actual_access:  read_only
        .address_space:  global
        .offset:         32
        .size:           8
        .value_kind:     global_buffer
      - .address_space:  global
        .offset:         40
        .size:           8
        .value_kind:     global_buffer
    .group_segment_fixed_size: 1280
    .kernarg_segment_align: 8
    .kernarg_segment_size: 48
    .language:       OpenCL C
    .language_version:
      - 2
      - 0
    .max_flat_workgroup_size: 64
    .name:           _ZN9rocsparseL44gtsv_nopivot_strided_batch_pcr_shared_kernelILj64EfEEviiiPKT0_S3_S3_PS1_
    .private_segment_fixed_size: 0
    .sgpr_count:     10
    .sgpr_spill_count: 0
    .symbol:         _ZN9rocsparseL44gtsv_nopivot_strided_batch_pcr_shared_kernelILj64EfEEviiiPKT0_S3_S3_PS1_.kd
    .uniform_work_group_size: 1
    .uses_dynamic_stack: false
    .vgpr_count:     27
    .vgpr_spill_count: 0
    .wavefront_size: 32
  - .args:
      - .offset:         0
        .size:           4
        .value_kind:     by_value
      - .offset:         4
        .size:           4
        .value_kind:     by_value
      - .offset:         8
        .size:           4
        .value_kind:     by_value
      - .actual_access:  read_only
        .address_space:  global
        .offset:         16
        .size:           8
        .value_kind:     global_buffer
      - .actual_access:  read_only
        .address_space:  global
        .offset:         24
        .size:           8
        .value_kind:     global_buffer
      - .actual_access:  read_only
        .address_space:  global
        .offset:         32
        .size:           8
        .value_kind:     global_buffer
      - .address_space:  global
        .offset:         40
        .size:           8
        .value_kind:     global_buffer
    .group_segment_fixed_size: 2560
    .kernarg_segment_align: 8
    .kernarg_segment_size: 48
    .language:       OpenCL C
    .language_version:
      - 2
      - 0
    .max_flat_workgroup_size: 128
    .name:           _ZN9rocsparseL44gtsv_nopivot_strided_batch_pcr_shared_kernelILj128EfEEviiiPKT0_S3_S3_PS1_
    .private_segment_fixed_size: 0
    .sgpr_count:     10
    .sgpr_spill_count: 0
    .symbol:         _ZN9rocsparseL44gtsv_nopivot_strided_batch_pcr_shared_kernelILj128EfEEviiiPKT0_S3_S3_PS1_.kd
    .uniform_work_group_size: 1
    .uses_dynamic_stack: false
    .vgpr_count:     27
    .vgpr_spill_count: 0
    .wavefront_size: 32
  - .args:
      - .offset:         0
        .size:           4
        .value_kind:     by_value
      - .offset:         4
        .size:           4
        .value_kind:     by_value
      - .offset:         8
        .size:           4
        .value_kind:     by_value
      - .actual_access:  read_only
        .address_space:  global
        .offset:         16
        .size:           8
        .value_kind:     global_buffer
      - .actual_access:  read_only
        .address_space:  global
        .offset:         24
        .size:           8
        .value_kind:     global_buffer
      - .actual_access:  read_only
        .address_space:  global
        .offset:         32
        .size:           8
        .value_kind:     global_buffer
      - .address_space:  global
        .offset:         40
        .size:           8
        .value_kind:     global_buffer
    .group_segment_fixed_size: 5120
    .kernarg_segment_align: 8
    .kernarg_segment_size: 48
    .language:       OpenCL C
    .language_version:
      - 2
      - 0
    .max_flat_workgroup_size: 256
    .name:           _ZN9rocsparseL44gtsv_nopivot_strided_batch_pcr_shared_kernelILj256EfEEviiiPKT0_S3_S3_PS1_
    .private_segment_fixed_size: 0
    .sgpr_count:     10
    .sgpr_spill_count: 0
    .symbol:         _ZN9rocsparseL44gtsv_nopivot_strided_batch_pcr_shared_kernelILj256EfEEviiiPKT0_S3_S3_PS1_.kd
    .uniform_work_group_size: 1
    .uses_dynamic_stack: false
    .vgpr_count:     27
    .vgpr_spill_count: 0
    .wavefront_size: 32
  - .args:
      - .offset:         0
        .size:           4
        .value_kind:     by_value
      - .offset:         4
        .size:           4
        .value_kind:     by_value
      - .offset:         8
        .size:           4
        .value_kind:     by_value
      - .actual_access:  read_only
        .address_space:  global
        .offset:         16
        .size:           8
        .value_kind:     global_buffer
      - .actual_access:  read_only
        .address_space:  global
        .offset:         24
        .size:           8
        .value_kind:     global_buffer
      - .actual_access:  read_only
        .address_space:  global
        .offset:         32
        .size:           8
        .value_kind:     global_buffer
      - .address_space:  global
        .offset:         40
        .size:           8
        .value_kind:     global_buffer
    .group_segment_fixed_size: 10240
    .kernarg_segment_align: 8
    .kernarg_segment_size: 48
    .language:       OpenCL C
    .language_version:
      - 2
      - 0
    .max_flat_workgroup_size: 512
    .name:           _ZN9rocsparseL44gtsv_nopivot_strided_batch_pcr_shared_kernelILj512EfEEviiiPKT0_S3_S3_PS1_
    .private_segment_fixed_size: 0
    .sgpr_count:     10
    .sgpr_spill_count: 0
    .symbol:         _ZN9rocsparseL44gtsv_nopivot_strided_batch_pcr_shared_kernelILj512EfEEviiiPKT0_S3_S3_PS1_.kd
    .uniform_work_group_size: 1
    .uses_dynamic_stack: false
    .vgpr_count:     27
    .vgpr_spill_count: 0
    .wavefront_size: 32
  - .args:
      - .offset:         0
        .size:           4
        .value_kind:     by_value
      - .offset:         4
        .size:           4
        .value_kind:     by_value
      - .offset:         8
        .size:           4
        .value_kind:     by_value
      - .offset:         12
        .size:           4
        .value_kind:     by_value
      - .actual_access:  read_only
        .address_space:  global
        .offset:         16
        .size:           8
        .value_kind:     global_buffer
      - .actual_access:  read_only
        .address_space:  global
        .offset:         24
        .size:           8
        .value_kind:     global_buffer
      - .actual_access:  read_only
        .address_space:  global
        .offset:         32
        .size:           8
        .value_kind:     global_buffer
      - .actual_access:  read_only
        .address_space:  global
        .offset:         40
        .size:           8
        .value_kind:     global_buffer
      - .actual_access:  write_only
        .address_space:  global
        .offset:         48
        .size:           8
        .value_kind:     global_buffer
      - .actual_access:  write_only
        .address_space:  global
        .offset:         56
        .size:           8
        .value_kind:     global_buffer
      - .actual_access:  write_only
        .address_space:  global
        .offset:         64
        .size:           8
        .value_kind:     global_buffer
      - .actual_access:  write_only
        .address_space:  global
        .offset:         72
        .size:           8
        .value_kind:     global_buffer
    .group_segment_fixed_size: 0
    .kernarg_segment_align: 8
    .kernarg_segment_size: 80
    .language:       OpenCL C
    .language_version:
      - 2
      - 0
    .max_flat_workgroup_size: 256
    .name:           _ZN9rocsparseL49gtsv_nopivot_strided_batch_pcr_pow2_stage1_kernelILj256EfEEviiiiPKT0_S3_S3_S3_PS1_S4_S4_S4_
    .private_segment_fixed_size: 0
    .sgpr_count:     20
    .sgpr_spill_count: 0
    .symbol:         _ZN9rocsparseL49gtsv_nopivot_strided_batch_pcr_pow2_stage1_kernelILj256EfEEviiiiPKT0_S3_S3_S3_PS1_S4_S4_S4_.kd
    .uniform_work_group_size: 1
    .uses_dynamic_stack: false
    .vgpr_count:     23
    .vgpr_spill_count: 0
    .wavefront_size: 32
  - .args:
      - .offset:         0
        .size:           4
        .value_kind:     by_value
      - .offset:         4
        .size:           4
        .value_kind:     by_value
      - .offset:         8
        .size:           4
        .value_kind:     by_value
      - .actual_access:  read_only
        .address_space:  global
        .offset:         16
        .size:           8
        .value_kind:     global_buffer
      - .actual_access:  read_only
        .address_space:  global
        .offset:         24
        .size:           8
        .value_kind:     global_buffer
      - .actual_access:  read_only
        .address_space:  global
        .offset:         32
        .size:           8
        .value_kind:     global_buffer
      - .actual_access:  read_only
        .address_space:  global
        .offset:         40
        .size:           8
        .value_kind:     global_buffer
      - .actual_access:  write_only
        .address_space:  global
        .offset:         48
        .size:           8
        .value_kind:     global_buffer
      - .offset:         56
        .size:           4
        .value_kind:     hidden_block_count_x
      - .offset:         60
        .size:           4
        .value_kind:     hidden_block_count_y
      - .offset:         64
        .size:           4
        .value_kind:     hidden_block_count_z
      - .offset:         68
        .size:           2
        .value_kind:     hidden_group_size_x
      - .offset:         70
        .size:           2
        .value_kind:     hidden_group_size_y
      - .offset:         72
        .size:           2
        .value_kind:     hidden_group_size_z
      - .offset:         74
        .size:           2
        .value_kind:     hidden_remainder_x
      - .offset:         76
        .size:           2
        .value_kind:     hidden_remainder_y
      - .offset:         78
        .size:           2
        .value_kind:     hidden_remainder_z
      - .offset:         96
        .size:           8
        .value_kind:     hidden_global_offset_x
      - .offset:         104
        .size:           8
        .value_kind:     hidden_global_offset_y
      - .offset:         112
        .size:           8
        .value_kind:     hidden_global_offset_z
      - .offset:         120
        .size:           2
        .value_kind:     hidden_grid_dims
    .group_segment_fixed_size: 10240
    .kernarg_segment_align: 8
    .kernarg_segment_size: 312
    .language:       OpenCL C
    .language_version:
      - 2
      - 0
    .max_flat_workgroup_size: 256
    .name:           _ZN9rocsparseL48gtsv_nopivot_strided_batch_cr_pow2_stage2_kernelILj256EfEEviiiPKT0_S3_S3_S3_PS1_
    .private_segment_fixed_size: 0
    .sgpr_count:     22
    .sgpr_spill_count: 0
    .symbol:         _ZN9rocsparseL48gtsv_nopivot_strided_batch_cr_pow2_stage2_kernelILj256EfEEviiiPKT0_S3_S3_S3_PS1_.kd
    .uniform_work_group_size: 1
    .uses_dynamic_stack: false
    .vgpr_count:     30
    .vgpr_spill_count: 0
    .wavefront_size: 32
  - .args:
      - .offset:         0
        .size:           4
        .value_kind:     by_value
      - .offset:         4
        .size:           4
        .value_kind:     by_value
      - .offset:         8
        .size:           4
        .value_kind:     by_value
      - .offset:         12
        .size:           4
        .value_kind:     by_value
      - .actual_access:  read_only
        .address_space:  global
        .offset:         16
        .size:           8
        .value_kind:     global_buffer
      - .actual_access:  read_only
        .address_space:  global
        .offset:         24
        .size:           8
        .value_kind:     global_buffer
      - .actual_access:  read_only
        .address_space:  global
        .offset:         32
        .size:           8
        .value_kind:     global_buffer
      - .actual_access:  read_only
        .address_space:  global
        .offset:         40
        .size:           8
        .value_kind:     global_buffer
      - .actual_access:  write_only
        .address_space:  global
        .offset:         48
        .size:           8
        .value_kind:     global_buffer
      - .actual_access:  write_only
        .address_space:  global
        .offset:         56
        .size:           8
        .value_kind:     global_buffer
      - .actual_access:  write_only
        .address_space:  global
        .offset:         64
        .size:           8
        .value_kind:     global_buffer
      - .actual_access:  write_only
        .address_space:  global
        .offset:         72
        .size:           8
        .value_kind:     global_buffer
    .group_segment_fixed_size: 0
    .kernarg_segment_align: 8
    .kernarg_segment_size: 80
    .language:       OpenCL C
    .language_version:
      - 2
      - 0
    .max_flat_workgroup_size: 256
    .name:           _ZN9rocsparseL44gtsv_nopivot_strided_batch_pcr_stage1_kernelILj256EfEEviiiiPKT0_S3_S3_S3_PS1_S4_S4_S4_
    .private_segment_fixed_size: 0
    .sgpr_count:     19
    .sgpr_spill_count: 0
    .symbol:         _ZN9rocsparseL44gtsv_nopivot_strided_batch_pcr_stage1_kernelILj256EfEEviiiiPKT0_S3_S3_S3_PS1_S4_S4_S4_.kd
    .uniform_work_group_size: 1
    .uses_dynamic_stack: false
    .vgpr_count:     23
    .vgpr_spill_count: 0
    .wavefront_size: 32
  - .args:
      - .offset:         0
        .size:           4
        .value_kind:     by_value
      - .offset:         4
        .size:           4
        .value_kind:     by_value
      - .offset:         8
        .size:           4
        .value_kind:     by_value
      - .actual_access:  read_only
        .address_space:  global
        .offset:         16
        .size:           8
        .value_kind:     global_buffer
      - .actual_access:  read_only
        .address_space:  global
        .offset:         24
        .size:           8
        .value_kind:     global_buffer
      - .actual_access:  read_only
        .address_space:  global
        .offset:         32
        .size:           8
        .value_kind:     global_buffer
      - .actual_access:  read_only
        .address_space:  global
        .offset:         40
        .size:           8
        .value_kind:     global_buffer
      - .actual_access:  write_only
        .address_space:  global
        .offset:         48
        .size:           8
        .value_kind:     global_buffer
      - .offset:         56
        .size:           4
        .value_kind:     hidden_block_count_x
      - .offset:         60
        .size:           4
        .value_kind:     hidden_block_count_y
      - .offset:         64
        .size:           4
        .value_kind:     hidden_block_count_z
      - .offset:         68
        .size:           2
        .value_kind:     hidden_group_size_x
      - .offset:         70
        .size:           2
        .value_kind:     hidden_group_size_y
      - .offset:         72
        .size:           2
        .value_kind:     hidden_group_size_z
      - .offset:         74
        .size:           2
        .value_kind:     hidden_remainder_x
      - .offset:         76
        .size:           2
        .value_kind:     hidden_remainder_y
      - .offset:         78
        .size:           2
        .value_kind:     hidden_remainder_z
      - .offset:         96
        .size:           8
        .value_kind:     hidden_global_offset_x
      - .offset:         104
        .size:           8
        .value_kind:     hidden_global_offset_y
      - .offset:         112
        .size:           8
        .value_kind:     hidden_global_offset_z
      - .offset:         120
        .size:           2
        .value_kind:     hidden_grid_dims
    .group_segment_fixed_size: 10240
    .kernarg_segment_align: 8
    .kernarg_segment_size: 312
    .language:       OpenCL C
    .language_version:
      - 2
      - 0
    .max_flat_workgroup_size: 512
    .name:           _ZN9rocsparseL44gtsv_nopivot_strided_batch_pcr_stage2_kernelILj512EfEEviiiPKT0_S3_S3_S3_PS1_
    .private_segment_fixed_size: 0
    .sgpr_count:     19
    .sgpr_spill_count: 0
    .symbol:         _ZN9rocsparseL44gtsv_nopivot_strided_batch_pcr_stage2_kernelILj512EfEEviiiPKT0_S3_S3_S3_PS1_.kd
    .uniform_work_group_size: 1
    .uses_dynamic_stack: false
    .vgpr_count:     25
    .vgpr_spill_count: 0
    .wavefront_size: 32
  - .args:
      - .offset:         0
        .size:           4
        .value_kind:     by_value
      - .offset:         4
        .size:           4
        .value_kind:     by_value
      - .offset:         8
        .size:           4
        .value_kind:     by_value
      - .actual_access:  read_only
        .address_space:  global
        .offset:         16
        .size:           8
        .value_kind:     global_buffer
      - .actual_access:  read_only
        .address_space:  global
        .offset:         24
        .size:           8
        .value_kind:     global_buffer
      - .actual_access:  read_only
        .address_space:  global
        .offset:         32
        .size:           8
        .value_kind:     global_buffer
      - .address_space:  global
        .offset:         40
        .size:           8
        .value_kind:     global_buffer
    .group_segment_fixed_size: 152
    .kernarg_segment_align: 8
    .kernarg_segment_size: 48
    .language:       OpenCL C
    .language_version:
      - 2
      - 0
    .max_flat_workgroup_size: 2
    .name:           _ZN9rocsparseL49gtsv_nopivot_strided_batch_pcr_pow2_shared_kernelILj2EdEEviiiPKT0_S3_S3_PS1_
    .private_segment_fixed_size: 0
    .sgpr_count:     14
    .sgpr_spill_count: 0
    .symbol:         _ZN9rocsparseL49gtsv_nopivot_strided_batch_pcr_pow2_shared_kernelILj2EdEEviiiPKT0_S3_S3_PS1_.kd
    .uniform_work_group_size: 1
    .uses_dynamic_stack: false
    .vgpr_count:     26
    .vgpr_spill_count: 0
    .wavefront_size: 32
  - .args:
      - .offset:         0
        .size:           4
        .value_kind:     by_value
      - .offset:         4
        .size:           4
        .value_kind:     by_value
      - .offset:         8
        .size:           4
        .value_kind:     by_value
      - .actual_access:  read_only
        .address_space:  global
        .offset:         16
        .size:           8
        .value_kind:     global_buffer
      - .actual_access:  read_only
        .address_space:  global
        .offset:         24
        .size:           8
        .value_kind:     global_buffer
      - .actual_access:  read_only
        .address_space:  global
        .offset:         32
        .size:           8
        .value_kind:     global_buffer
      - .address_space:  global
        .offset:         40
        .size:           8
        .value_kind:     global_buffer
    .group_segment_fixed_size: 232
    .kernarg_segment_align: 8
    .kernarg_segment_size: 48
    .language:       OpenCL C
    .language_version:
      - 2
      - 0
    .max_flat_workgroup_size: 4
    .name:           _ZN9rocsparseL49gtsv_nopivot_strided_batch_pcr_pow2_shared_kernelILj4EdEEviiiPKT0_S3_S3_PS1_
    .private_segment_fixed_size: 0
    .sgpr_count:     14
    .sgpr_spill_count: 0
    .symbol:         _ZN9rocsparseL49gtsv_nopivot_strided_batch_pcr_pow2_shared_kernelILj4EdEEviiiPKT0_S3_S3_PS1_.kd
    .uniform_work_group_size: 1
    .uses_dynamic_stack: false
    .vgpr_count:     38
    .vgpr_spill_count: 0
    .wavefront_size: 32
  - .args:
      - .offset:         0
        .size:           4
        .value_kind:     by_value
      - .offset:         4
        .size:           4
        .value_kind:     by_value
      - .offset:         8
        .size:           4
        .value_kind:     by_value
      - .actual_access:  read_only
        .address_space:  global
        .offset:         16
        .size:           8
        .value_kind:     global_buffer
      - .actual_access:  read_only
        .address_space:  global
        .offset:         24
        .size:           8
        .value_kind:     global_buffer
      - .actual_access:  read_only
        .address_space:  global
        .offset:         32
        .size:           8
        .value_kind:     global_buffer
      - .address_space:  global
        .offset:         40
        .size:           8
        .value_kind:     global_buffer
    .group_segment_fixed_size: 392
    .kernarg_segment_align: 8
    .kernarg_segment_size: 48
    .language:       OpenCL C
    .language_version:
      - 2
      - 0
    .max_flat_workgroup_size: 8
    .name:           _ZN9rocsparseL49gtsv_nopivot_strided_batch_pcr_pow2_shared_kernelILj8EdEEviiiPKT0_S3_S3_PS1_
    .private_segment_fixed_size: 0
    .sgpr_count:     14
    .sgpr_spill_count: 0
    .symbol:         _ZN9rocsparseL49gtsv_nopivot_strided_batch_pcr_pow2_shared_kernelILj8EdEEviiiPKT0_S3_S3_PS1_.kd
    .uniform_work_group_size: 1
    .uses_dynamic_stack: false
    .vgpr_count:     38
    .vgpr_spill_count: 0
    .wavefront_size: 32
  - .args:
      - .offset:         0
        .size:           4
        .value_kind:     by_value
      - .offset:         4
        .size:           4
        .value_kind:     by_value
      - .offset:         8
        .size:           4
        .value_kind:     by_value
      - .actual_access:  read_only
        .address_space:  global
        .offset:         16
        .size:           8
        .value_kind:     global_buffer
      - .actual_access:  read_only
        .address_space:  global
        .offset:         24
        .size:           8
        .value_kind:     global_buffer
      - .actual_access:  read_only
        .address_space:  global
        .offset:         32
        .size:           8
        .value_kind:     global_buffer
      - .address_space:  global
        .offset:         40
        .size:           8
        .value_kind:     global_buffer
    .group_segment_fixed_size: 712
    .kernarg_segment_align: 8
    .kernarg_segment_size: 48
    .language:       OpenCL C
    .language_version:
      - 2
      - 0
    .max_flat_workgroup_size: 16
    .name:           _ZN9rocsparseL49gtsv_nopivot_strided_batch_pcr_pow2_shared_kernelILj16EdEEviiiPKT0_S3_S3_PS1_
    .private_segment_fixed_size: 0
    .sgpr_count:     14
    .sgpr_spill_count: 0
    .symbol:         _ZN9rocsparseL49gtsv_nopivot_strided_batch_pcr_pow2_shared_kernelILj16EdEEviiiPKT0_S3_S3_PS1_.kd
    .uniform_work_group_size: 1
    .uses_dynamic_stack: false
    .vgpr_count:     38
    .vgpr_spill_count: 0
    .wavefront_size: 32
  - .args:
      - .offset:         0
        .size:           4
        .value_kind:     by_value
      - .offset:         4
        .size:           4
        .value_kind:     by_value
      - .offset:         8
        .size:           4
        .value_kind:     by_value
      - .actual_access:  read_only
        .address_space:  global
        .offset:         16
        .size:           8
        .value_kind:     global_buffer
      - .actual_access:  read_only
        .address_space:  global
        .offset:         24
        .size:           8
        .value_kind:     global_buffer
      - .actual_access:  read_only
        .address_space:  global
        .offset:         32
        .size:           8
        .value_kind:     global_buffer
      - .address_space:  global
        .offset:         40
        .size:           8
        .value_kind:     global_buffer
    .group_segment_fixed_size: 1352
    .kernarg_segment_align: 8
    .kernarg_segment_size: 48
    .language:       OpenCL C
    .language_version:
      - 2
      - 0
    .max_flat_workgroup_size: 32
    .name:           _ZN9rocsparseL49gtsv_nopivot_strided_batch_pcr_pow2_shared_kernelILj32EdEEviiiPKT0_S3_S3_PS1_
    .private_segment_fixed_size: 0
    .sgpr_count:     14
    .sgpr_spill_count: 0
    .symbol:         _ZN9rocsparseL49gtsv_nopivot_strided_batch_pcr_pow2_shared_kernelILj32EdEEviiiPKT0_S3_S3_PS1_.kd
    .uniform_work_group_size: 1
    .uses_dynamic_stack: false
    .vgpr_count:     38
    .vgpr_spill_count: 0
    .wavefront_size: 32
  - .args:
      - .offset:         0
        .size:           4
        .value_kind:     by_value
      - .offset:         4
        .size:           4
        .value_kind:     by_value
      - .offset:         8
        .size:           4
        .value_kind:     by_value
      - .actual_access:  read_only
        .address_space:  global
        .offset:         16
        .size:           8
        .value_kind:     global_buffer
      - .actual_access:  read_only
        .address_space:  global
        .offset:         24
        .size:           8
        .value_kind:     global_buffer
      - .actual_access:  read_only
        .address_space:  global
        .offset:         32
        .size:           8
        .value_kind:     global_buffer
      - .address_space:  global
        .offset:         40
        .size:           8
        .value_kind:     global_buffer
    .group_segment_fixed_size: 2632
    .kernarg_segment_align: 8
    .kernarg_segment_size: 48
    .language:       OpenCL C
    .language_version:
      - 2
      - 0
    .max_flat_workgroup_size: 64
    .name:           _ZN9rocsparseL49gtsv_nopivot_strided_batch_pcr_pow2_shared_kernelILj64EdEEviiiPKT0_S3_S3_PS1_
    .private_segment_fixed_size: 0
    .sgpr_count:     14
    .sgpr_spill_count: 0
    .symbol:         _ZN9rocsparseL49gtsv_nopivot_strided_batch_pcr_pow2_shared_kernelILj64EdEEviiiPKT0_S3_S3_PS1_.kd
    .uniform_work_group_size: 1
    .uses_dynamic_stack: false
    .vgpr_count:     38
    .vgpr_spill_count: 0
    .wavefront_size: 32
  - .args:
      - .offset:         0
        .size:           4
        .value_kind:     by_value
      - .offset:         4
        .size:           4
        .value_kind:     by_value
      - .offset:         8
        .size:           4
        .value_kind:     by_value
      - .actual_access:  read_only
        .address_space:  global
        .offset:         16
        .size:           8
        .value_kind:     global_buffer
      - .actual_access:  read_only
        .address_space:  global
        .offset:         24
        .size:           8
        .value_kind:     global_buffer
      - .actual_access:  read_only
        .address_space:  global
        .offset:         32
        .size:           8
        .value_kind:     global_buffer
      - .address_space:  global
        .offset:         40
        .size:           8
        .value_kind:     global_buffer
    .group_segment_fixed_size: 7680
    .kernarg_segment_align: 8
    .kernarg_segment_size: 48
    .language:       OpenCL C
    .language_version:
      - 2
      - 0
    .max_flat_workgroup_size: 64
    .name:           _ZN9rocsparseL51gtsv_nopivot_strided_batch_crpcr_pow2_shared_kernelILj64ELj64EdEEviiiPKT1_S3_S3_PS1_
    .private_segment_fixed_size: 0
    .sgpr_count:     15
    .sgpr_spill_count: 0
    .symbol:         _ZN9rocsparseL51gtsv_nopivot_strided_batch_crpcr_pow2_shared_kernelILj64ELj64EdEEviiiPKT1_S3_S3_PS1_.kd
    .uniform_work_group_size: 1
    .uses_dynamic_stack: false
    .vgpr_count:     51
    .vgpr_spill_count: 0
    .wavefront_size: 32
  - .args:
      - .offset:         0
        .size:           4
        .value_kind:     by_value
      - .offset:         4
        .size:           4
        .value_kind:     by_value
      - .offset:         8
        .size:           4
        .value_kind:     by_value
      - .actual_access:  read_only
        .address_space:  global
        .offset:         16
        .size:           8
        .value_kind:     global_buffer
      - .actual_access:  read_only
        .address_space:  global
        .offset:         24
        .size:           8
        .value_kind:     global_buffer
      - .actual_access:  read_only
        .address_space:  global
        .offset:         32
        .size:           8
        .value_kind:     global_buffer
      - .address_space:  global
        .offset:         40
        .size:           8
        .value_kind:     global_buffer
    .group_segment_fixed_size: 12800
    .kernarg_segment_align: 8
    .kernarg_segment_size: 48
    .language:       OpenCL C
    .language_version:
      - 2
      - 0
    .max_flat_workgroup_size: 128
    .name:           _ZN9rocsparseL51gtsv_nopivot_strided_batch_crpcr_pow2_shared_kernelILj128ELj64EdEEviiiPKT1_S3_S3_PS1_
    .private_segment_fixed_size: 0
    .sgpr_count:     15
    .sgpr_spill_count: 0
    .symbol:         _ZN9rocsparseL51gtsv_nopivot_strided_batch_crpcr_pow2_shared_kernelILj128ELj64EdEEviiiPKT1_S3_S3_PS1_.kd
    .uniform_work_group_size: 1
    .uses_dynamic_stack: false
    .vgpr_count:     44
    .vgpr_spill_count: 0
    .wavefront_size: 32
  - .args:
      - .offset:         0
        .size:           4
        .value_kind:     by_value
      - .offset:         4
        .size:           4
        .value_kind:     by_value
      - .offset:         8
        .size:           4
        .value_kind:     by_value
      - .actual_access:  read_only
        .address_space:  global
        .offset:         16
        .size:           8
        .value_kind:     global_buffer
      - .actual_access:  read_only
        .address_space:  global
        .offset:         24
        .size:           8
        .value_kind:     global_buffer
      - .actual_access:  read_only
        .address_space:  global
        .offset:         32
        .size:           8
        .value_kind:     global_buffer
      - .address_space:  global
        .offset:         40
        .size:           8
        .value_kind:     global_buffer
    .group_segment_fixed_size: 23040
    .kernarg_segment_align: 8
    .kernarg_segment_size: 48
    .language:       OpenCL C
    .language_version:
      - 2
      - 0
    .max_flat_workgroup_size: 256
    .name:           _ZN9rocsparseL51gtsv_nopivot_strided_batch_crpcr_pow2_shared_kernelILj256ELj64EdEEviiiPKT1_S3_S3_PS1_
    .private_segment_fixed_size: 0
    .sgpr_count:     15
    .sgpr_spill_count: 0
    .symbol:         _ZN9rocsparseL51gtsv_nopivot_strided_batch_crpcr_pow2_shared_kernelILj256ELj64EdEEviiiPKT1_S3_S3_PS1_.kd
    .uniform_work_group_size: 1
    .uses_dynamic_stack: false
    .vgpr_count:     44
    .vgpr_spill_count: 0
    .wavefront_size: 32
  - .args:
      - .offset:         0
        .size:           4
        .value_kind:     by_value
      - .offset:         4
        .size:           4
        .value_kind:     by_value
      - .offset:         8
        .size:           4
        .value_kind:     by_value
      - .actual_access:  read_only
        .address_space:  global
        .offset:         16
        .size:           8
        .value_kind:     global_buffer
      - .actual_access:  read_only
        .address_space:  global
        .offset:         24
        .size:           8
        .value_kind:     global_buffer
      - .actual_access:  read_only
        .address_space:  global
        .offset:         32
        .size:           8
        .value_kind:     global_buffer
      - .address_space:  global
        .offset:         40
        .size:           8
        .value_kind:     global_buffer
    .group_segment_fixed_size: 160
    .kernarg_segment_align: 8
    .kernarg_segment_size: 48
    .language:       OpenCL C
    .language_version:
      - 2
      - 0
    .max_flat_workgroup_size: 4
    .name:           _ZN9rocsparseL44gtsv_nopivot_strided_batch_pcr_shared_kernelILj4EdEEviiiPKT0_S3_S3_PS1_
    .private_segment_fixed_size: 0
    .sgpr_count:     10
    .sgpr_spill_count: 0
    .symbol:         _ZN9rocsparseL44gtsv_nopivot_strided_batch_pcr_shared_kernelILj4EdEEviiiPKT0_S3_S3_PS1_.kd
    .uniform_work_group_size: 1
    .uses_dynamic_stack: false
    .vgpr_count:     39
    .vgpr_spill_count: 0
    .wavefront_size: 32
  - .args:
      - .offset:         0
        .size:           4
        .value_kind:     by_value
      - .offset:         4
        .size:           4
        .value_kind:     by_value
      - .offset:         8
        .size:           4
        .value_kind:     by_value
      - .actual_access:  read_only
        .address_space:  global
        .offset:         16
        .size:           8
        .value_kind:     global_buffer
      - .actual_access:  read_only
        .address_space:  global
        .offset:         24
        .size:           8
        .value_kind:     global_buffer
      - .actual_access:  read_only
        .address_space:  global
        .offset:         32
        .size:           8
        .value_kind:     global_buffer
      - .address_space:  global
        .offset:         40
        .size:           8
        .value_kind:     global_buffer
    .group_segment_fixed_size: 320
    .kernarg_segment_align: 8
    .kernarg_segment_size: 48
    .language:       OpenCL C
    .language_version:
      - 2
      - 0
    .max_flat_workgroup_size: 8
    .name:           _ZN9rocsparseL44gtsv_nopivot_strided_batch_pcr_shared_kernelILj8EdEEviiiPKT0_S3_S3_PS1_
    .private_segment_fixed_size: 0
    .sgpr_count:     10
    .sgpr_spill_count: 0
    .symbol:         _ZN9rocsparseL44gtsv_nopivot_strided_batch_pcr_shared_kernelILj8EdEEviiiPKT0_S3_S3_PS1_.kd
    .uniform_work_group_size: 1
    .uses_dynamic_stack: false
    .vgpr_count:     39
    .vgpr_spill_count: 0
    .wavefront_size: 32
  - .args:
      - .offset:         0
        .size:           4
        .value_kind:     by_value
      - .offset:         4
        .size:           4
        .value_kind:     by_value
      - .offset:         8
        .size:           4
        .value_kind:     by_value
      - .actual_access:  read_only
        .address_space:  global
        .offset:         16
        .size:           8
        .value_kind:     global_buffer
      - .actual_access:  read_only
        .address_space:  global
        .offset:         24
        .size:           8
        .value_kind:     global_buffer
      - .actual_access:  read_only
        .address_space:  global
        .offset:         32
        .size:           8
        .value_kind:     global_buffer
      - .address_space:  global
        .offset:         40
        .size:           8
        .value_kind:     global_buffer
    .group_segment_fixed_size: 640
    .kernarg_segment_align: 8
    .kernarg_segment_size: 48
    .language:       OpenCL C
    .language_version:
      - 2
      - 0
    .max_flat_workgroup_size: 16
    .name:           _ZN9rocsparseL44gtsv_nopivot_strided_batch_pcr_shared_kernelILj16EdEEviiiPKT0_S3_S3_PS1_
    .private_segment_fixed_size: 0
    .sgpr_count:     10
    .sgpr_spill_count: 0
    .symbol:         _ZN9rocsparseL44gtsv_nopivot_strided_batch_pcr_shared_kernelILj16EdEEviiiPKT0_S3_S3_PS1_.kd
    .uniform_work_group_size: 1
    .uses_dynamic_stack: false
    .vgpr_count:     39
    .vgpr_spill_count: 0
    .wavefront_size: 32
  - .args:
      - .offset:         0
        .size:           4
        .value_kind:     by_value
      - .offset:         4
        .size:           4
        .value_kind:     by_value
      - .offset:         8
        .size:           4
        .value_kind:     by_value
      - .actual_access:  read_only
        .address_space:  global
        .offset:         16
        .size:           8
        .value_kind:     global_buffer
      - .actual_access:  read_only
        .address_space:  global
        .offset:         24
        .size:           8
        .value_kind:     global_buffer
      - .actual_access:  read_only
        .address_space:  global
        .offset:         32
        .size:           8
        .value_kind:     global_buffer
      - .address_space:  global
        .offset:         40
        .size:           8
        .value_kind:     global_buffer
    .group_segment_fixed_size: 1280
    .kernarg_segment_align: 8
    .kernarg_segment_size: 48
    .language:       OpenCL C
    .language_version:
      - 2
      - 0
    .max_flat_workgroup_size: 32
    .name:           _ZN9rocsparseL44gtsv_nopivot_strided_batch_pcr_shared_kernelILj32EdEEviiiPKT0_S3_S3_PS1_
    .private_segment_fixed_size: 0
    .sgpr_count:     10
    .sgpr_spill_count: 0
    .symbol:         _ZN9rocsparseL44gtsv_nopivot_strided_batch_pcr_shared_kernelILj32EdEEviiiPKT0_S3_S3_PS1_.kd
    .uniform_work_group_size: 1
    .uses_dynamic_stack: false
    .vgpr_count:     39
    .vgpr_spill_count: 0
    .wavefront_size: 32
  - .args:
      - .offset:         0
        .size:           4
        .value_kind:     by_value
      - .offset:         4
        .size:           4
        .value_kind:     by_value
      - .offset:         8
        .size:           4
        .value_kind:     by_value
      - .actual_access:  read_only
        .address_space:  global
        .offset:         16
        .size:           8
        .value_kind:     global_buffer
      - .actual_access:  read_only
        .address_space:  global
        .offset:         24
        .size:           8
        .value_kind:     global_buffer
      - .actual_access:  read_only
        .address_space:  global
        .offset:         32
        .size:           8
        .value_kind:     global_buffer
      - .address_space:  global
        .offset:         40
        .size:           8
        .value_kind:     global_buffer
    .group_segment_fixed_size: 2560
    .kernarg_segment_align: 8
    .kernarg_segment_size: 48
    .language:       OpenCL C
    .language_version:
      - 2
      - 0
    .max_flat_workgroup_size: 64
    .name:           _ZN9rocsparseL44gtsv_nopivot_strided_batch_pcr_shared_kernelILj64EdEEviiiPKT0_S3_S3_PS1_
    .private_segment_fixed_size: 0
    .sgpr_count:     10
    .sgpr_spill_count: 0
    .symbol:         _ZN9rocsparseL44gtsv_nopivot_strided_batch_pcr_shared_kernelILj64EdEEviiiPKT0_S3_S3_PS1_.kd
    .uniform_work_group_size: 1
    .uses_dynamic_stack: false
    .vgpr_count:     39
    .vgpr_spill_count: 0
    .wavefront_size: 32
  - .args:
      - .offset:         0
        .size:           4
        .value_kind:     by_value
      - .offset:         4
        .size:           4
        .value_kind:     by_value
      - .offset:         8
        .size:           4
        .value_kind:     by_value
      - .actual_access:  read_only
        .address_space:  global
        .offset:         16
        .size:           8
        .value_kind:     global_buffer
      - .actual_access:  read_only
        .address_space:  global
        .offset:         24
        .size:           8
        .value_kind:     global_buffer
      - .actual_access:  read_only
        .address_space:  global
        .offset:         32
        .size:           8
        .value_kind:     global_buffer
      - .address_space:  global
        .offset:         40
        .size:           8
        .value_kind:     global_buffer
    .group_segment_fixed_size: 5120
    .kernarg_segment_align: 8
    .kernarg_segment_size: 48
    .language:       OpenCL C
    .language_version:
      - 2
      - 0
    .max_flat_workgroup_size: 128
    .name:           _ZN9rocsparseL44gtsv_nopivot_strided_batch_pcr_shared_kernelILj128EdEEviiiPKT0_S3_S3_PS1_
    .private_segment_fixed_size: 0
    .sgpr_count:     10
    .sgpr_spill_count: 0
    .symbol:         _ZN9rocsparseL44gtsv_nopivot_strided_batch_pcr_shared_kernelILj128EdEEviiiPKT0_S3_S3_PS1_.kd
    .uniform_work_group_size: 1
    .uses_dynamic_stack: false
    .vgpr_count:     39
    .vgpr_spill_count: 0
    .wavefront_size: 32
  - .args:
      - .offset:         0
        .size:           4
        .value_kind:     by_value
      - .offset:         4
        .size:           4
        .value_kind:     by_value
      - .offset:         8
        .size:           4
        .value_kind:     by_value
      - .actual_access:  read_only
        .address_space:  global
        .offset:         16
        .size:           8
        .value_kind:     global_buffer
      - .actual_access:  read_only
        .address_space:  global
        .offset:         24
        .size:           8
        .value_kind:     global_buffer
      - .actual_access:  read_only
        .address_space:  global
        .offset:         32
        .size:           8
        .value_kind:     global_buffer
      - .address_space:  global
        .offset:         40
        .size:           8
        .value_kind:     global_buffer
    .group_segment_fixed_size: 10240
    .kernarg_segment_align: 8
    .kernarg_segment_size: 48
    .language:       OpenCL C
    .language_version:
      - 2
      - 0
    .max_flat_workgroup_size: 256
    .name:           _ZN9rocsparseL44gtsv_nopivot_strided_batch_pcr_shared_kernelILj256EdEEviiiPKT0_S3_S3_PS1_
    .private_segment_fixed_size: 0
    .sgpr_count:     10
    .sgpr_spill_count: 0
    .symbol:         _ZN9rocsparseL44gtsv_nopivot_strided_batch_pcr_shared_kernelILj256EdEEviiiPKT0_S3_S3_PS1_.kd
    .uniform_work_group_size: 1
    .uses_dynamic_stack: false
    .vgpr_count:     39
    .vgpr_spill_count: 0
    .wavefront_size: 32
  - .args:
      - .offset:         0
        .size:           4
        .value_kind:     by_value
      - .offset:         4
        .size:           4
        .value_kind:     by_value
      - .offset:         8
        .size:           4
        .value_kind:     by_value
      - .actual_access:  read_only
        .address_space:  global
        .offset:         16
        .size:           8
        .value_kind:     global_buffer
      - .actual_access:  read_only
        .address_space:  global
        .offset:         24
        .size:           8
        .value_kind:     global_buffer
      - .actual_access:  read_only
        .address_space:  global
        .offset:         32
        .size:           8
        .value_kind:     global_buffer
      - .address_space:  global
        .offset:         40
        .size:           8
        .value_kind:     global_buffer
    .group_segment_fixed_size: 20480
    .kernarg_segment_align: 8
    .kernarg_segment_size: 48
    .language:       OpenCL C
    .language_version:
      - 2
      - 0
    .max_flat_workgroup_size: 512
    .name:           _ZN9rocsparseL44gtsv_nopivot_strided_batch_pcr_shared_kernelILj512EdEEviiiPKT0_S3_S3_PS1_
    .private_segment_fixed_size: 0
    .sgpr_count:     10
    .sgpr_spill_count: 0
    .symbol:         _ZN9rocsparseL44gtsv_nopivot_strided_batch_pcr_shared_kernelILj512EdEEviiiPKT0_S3_S3_PS1_.kd
    .uniform_work_group_size: 1
    .uses_dynamic_stack: false
    .vgpr_count:     39
    .vgpr_spill_count: 0
    .wavefront_size: 32
  - .args:
      - .offset:         0
        .size:           4
        .value_kind:     by_value
      - .offset:         4
        .size:           4
        .value_kind:     by_value
      - .offset:         8
        .size:           4
        .value_kind:     by_value
      - .offset:         12
        .size:           4
        .value_kind:     by_value
      - .actual_access:  read_only
        .address_space:  global
        .offset:         16
        .size:           8
        .value_kind:     global_buffer
      - .actual_access:  read_only
        .address_space:  global
        .offset:         24
        .size:           8
        .value_kind:     global_buffer
      - .actual_access:  read_only
        .address_space:  global
        .offset:         32
        .size:           8
        .value_kind:     global_buffer
      - .actual_access:  read_only
        .address_space:  global
        .offset:         40
        .size:           8
        .value_kind:     global_buffer
      - .actual_access:  write_only
        .address_space:  global
        .offset:         48
        .size:           8
        .value_kind:     global_buffer
      - .actual_access:  write_only
        .address_space:  global
        .offset:         56
        .size:           8
        .value_kind:     global_buffer
      - .actual_access:  write_only
        .address_space:  global
        .offset:         64
        .size:           8
        .value_kind:     global_buffer
      - .actual_access:  write_only
        .address_space:  global
        .offset:         72
        .size:           8
        .value_kind:     global_buffer
    .group_segment_fixed_size: 0
    .kernarg_segment_align: 8
    .kernarg_segment_size: 80
    .language:       OpenCL C
    .language_version:
      - 2
      - 0
    .max_flat_workgroup_size: 256
    .name:           _ZN9rocsparseL49gtsv_nopivot_strided_batch_pcr_pow2_stage1_kernelILj256EdEEviiiiPKT0_S3_S3_S3_PS1_S4_S4_S4_
    .private_segment_fixed_size: 0
    .sgpr_count:     20
    .sgpr_spill_count: 0
    .symbol:         _ZN9rocsparseL49gtsv_nopivot_strided_batch_pcr_pow2_stage1_kernelILj256EdEEviiiiPKT0_S3_S3_S3_PS1_S4_S4_S4_.kd
    .uniform_work_group_size: 1
    .uses_dynamic_stack: false
    .vgpr_count:     41
    .vgpr_spill_count: 0
    .wavefront_size: 32
  - .args:
      - .offset:         0
        .size:           4
        .value_kind:     by_value
      - .offset:         4
        .size:           4
        .value_kind:     by_value
      - .offset:         8
        .size:           4
        .value_kind:     by_value
      - .actual_access:  read_only
        .address_space:  global
        .offset:         16
        .size:           8
        .value_kind:     global_buffer
      - .actual_access:  read_only
        .address_space:  global
        .offset:         24
        .size:           8
        .value_kind:     global_buffer
      - .actual_access:  read_only
        .address_space:  global
        .offset:         32
        .size:           8
        .value_kind:     global_buffer
      - .actual_access:  read_only
        .address_space:  global
        .offset:         40
        .size:           8
        .value_kind:     global_buffer
      - .actual_access:  write_only
        .address_space:  global
        .offset:         48
        .size:           8
        .value_kind:     global_buffer
      - .offset:         56
        .size:           4
        .value_kind:     hidden_block_count_x
      - .offset:         60
        .size:           4
        .value_kind:     hidden_block_count_y
      - .offset:         64
        .size:           4
        .value_kind:     hidden_block_count_z
      - .offset:         68
        .size:           2
        .value_kind:     hidden_group_size_x
      - .offset:         70
        .size:           2
        .value_kind:     hidden_group_size_y
      - .offset:         72
        .size:           2
        .value_kind:     hidden_group_size_z
      - .offset:         74
        .size:           2
        .value_kind:     hidden_remainder_x
      - .offset:         76
        .size:           2
        .value_kind:     hidden_remainder_y
      - .offset:         78
        .size:           2
        .value_kind:     hidden_remainder_z
      - .offset:         96
        .size:           8
        .value_kind:     hidden_global_offset_x
      - .offset:         104
        .size:           8
        .value_kind:     hidden_global_offset_y
      - .offset:         112
        .size:           8
        .value_kind:     hidden_global_offset_z
      - .offset:         120
        .size:           2
        .value_kind:     hidden_grid_dims
    .group_segment_fixed_size: 20480
    .kernarg_segment_align: 8
    .kernarg_segment_size: 312
    .language:       OpenCL C
    .language_version:
      - 2
      - 0
    .max_flat_workgroup_size: 256
    .name:           _ZN9rocsparseL48gtsv_nopivot_strided_batch_cr_pow2_stage2_kernelILj256EdEEviiiPKT0_S3_S3_S3_PS1_
    .private_segment_fixed_size: 0
    .sgpr_count:     22
    .sgpr_spill_count: 0
    .symbol:         _ZN9rocsparseL48gtsv_nopivot_strided_batch_cr_pow2_stage2_kernelILj256EdEEviiiPKT0_S3_S3_S3_PS1_.kd
    .uniform_work_group_size: 1
    .uses_dynamic_stack: false
    .vgpr_count:     43
    .vgpr_spill_count: 0
    .wavefront_size: 32
  - .args:
      - .offset:         0
        .size:           4
        .value_kind:     by_value
      - .offset:         4
        .size:           4
        .value_kind:     by_value
      - .offset:         8
        .size:           4
        .value_kind:     by_value
      - .offset:         12
        .size:           4
        .value_kind:     by_value
      - .actual_access:  read_only
        .address_space:  global
        .offset:         16
        .size:           8
        .value_kind:     global_buffer
      - .actual_access:  read_only
        .address_space:  global
        .offset:         24
        .size:           8
        .value_kind:     global_buffer
      - .actual_access:  read_only
        .address_space:  global
        .offset:         32
        .size:           8
        .value_kind:     global_buffer
      - .actual_access:  read_only
        .address_space:  global
        .offset:         40
        .size:           8
        .value_kind:     global_buffer
      - .actual_access:  write_only
        .address_space:  global
        .offset:         48
        .size:           8
        .value_kind:     global_buffer
      - .actual_access:  write_only
        .address_space:  global
        .offset:         56
        .size:           8
        .value_kind:     global_buffer
      - .actual_access:  write_only
        .address_space:  global
        .offset:         64
        .size:           8
        .value_kind:     global_buffer
      - .actual_access:  write_only
        .address_space:  global
        .offset:         72
        .size:           8
        .value_kind:     global_buffer
    .group_segment_fixed_size: 0
    .kernarg_segment_align: 8
    .kernarg_segment_size: 80
    .language:       OpenCL C
    .language_version:
      - 2
      - 0
    .max_flat_workgroup_size: 256
    .name:           _ZN9rocsparseL44gtsv_nopivot_strided_batch_pcr_stage1_kernelILj256EdEEviiiiPKT0_S3_S3_S3_PS1_S4_S4_S4_
    .private_segment_fixed_size: 0
    .sgpr_count:     18
    .sgpr_spill_count: 0
    .symbol:         _ZN9rocsparseL44gtsv_nopivot_strided_batch_pcr_stage1_kernelILj256EdEEviiiiPKT0_S3_S3_S3_PS1_S4_S4_S4_.kd
    .uniform_work_group_size: 1
    .uses_dynamic_stack: false
    .vgpr_count:     42
    .vgpr_spill_count: 0
    .wavefront_size: 32
  - .args:
      - .offset:         0
        .size:           4
        .value_kind:     by_value
      - .offset:         4
        .size:           4
        .value_kind:     by_value
      - .offset:         8
        .size:           4
        .value_kind:     by_value
      - .actual_access:  read_only
        .address_space:  global
        .offset:         16
        .size:           8
        .value_kind:     global_buffer
      - .actual_access:  read_only
        .address_space:  global
        .offset:         24
        .size:           8
        .value_kind:     global_buffer
      - .actual_access:  read_only
        .address_space:  global
        .offset:         32
        .size:           8
        .value_kind:     global_buffer
      - .actual_access:  read_only
        .address_space:  global
        .offset:         40
        .size:           8
        .value_kind:     global_buffer
      - .actual_access:  write_only
        .address_space:  global
        .offset:         48
        .size:           8
        .value_kind:     global_buffer
      - .offset:         56
        .size:           4
        .value_kind:     hidden_block_count_x
      - .offset:         60
        .size:           4
        .value_kind:     hidden_block_count_y
      - .offset:         64
        .size:           4
        .value_kind:     hidden_block_count_z
      - .offset:         68
        .size:           2
        .value_kind:     hidden_group_size_x
      - .offset:         70
        .size:           2
        .value_kind:     hidden_group_size_y
      - .offset:         72
        .size:           2
        .value_kind:     hidden_group_size_z
      - .offset:         74
        .size:           2
        .value_kind:     hidden_remainder_x
      - .offset:         76
        .size:           2
        .value_kind:     hidden_remainder_y
      - .offset:         78
        .size:           2
        .value_kind:     hidden_remainder_z
      - .offset:         96
        .size:           8
        .value_kind:     hidden_global_offset_x
      - .offset:         104
        .size:           8
        .value_kind:     hidden_global_offset_y
      - .offset:         112
        .size:           8
        .value_kind:     hidden_global_offset_z
      - .offset:         120
        .size:           2
        .value_kind:     hidden_grid_dims
    .group_segment_fixed_size: 20480
    .kernarg_segment_align: 8
    .kernarg_segment_size: 312
    .language:       OpenCL C
    .language_version:
      - 2
      - 0
    .max_flat_workgroup_size: 512
    .name:           _ZN9rocsparseL44gtsv_nopivot_strided_batch_pcr_stage2_kernelILj512EdEEviiiPKT0_S3_S3_S3_PS1_
    .private_segment_fixed_size: 0
    .sgpr_count:     19
    .sgpr_spill_count: 0
    .symbol:         _ZN9rocsparseL44gtsv_nopivot_strided_batch_pcr_stage2_kernelILj512EdEEviiiPKT0_S3_S3_S3_PS1_.kd
    .uniform_work_group_size: 1
    .uses_dynamic_stack: false
    .vgpr_count:     37
    .vgpr_spill_count: 0
    .wavefront_size: 32
  - .args:
      - .offset:         0
        .size:           4
        .value_kind:     by_value
      - .offset:         4
        .size:           4
        .value_kind:     by_value
      - .offset:         8
        .size:           4
        .value_kind:     by_value
      - .actual_access:  read_only
        .address_space:  global
        .offset:         16
        .size:           8
        .value_kind:     global_buffer
      - .actual_access:  read_only
        .address_space:  global
        .offset:         24
        .size:           8
        .value_kind:     global_buffer
      - .actual_access:  read_only
        .address_space:  global
        .offset:         32
        .size:           8
        .value_kind:     global_buffer
      - .address_space:  global
        .offset:         40
        .size:           8
        .value_kind:     global_buffer
    .group_segment_fixed_size: 152
    .kernarg_segment_align: 8
    .kernarg_segment_size: 48
    .language:       OpenCL C
    .language_version:
      - 2
      - 0
    .max_flat_workgroup_size: 2
    .name:           _ZN9rocsparseL49gtsv_nopivot_strided_batch_pcr_pow2_shared_kernelILj2E21rocsparse_complex_numIfEEEviiiPKT0_S5_S5_PS3_
    .private_segment_fixed_size: 0
    .sgpr_count:     14
    .sgpr_spill_count: 0
    .symbol:         _ZN9rocsparseL49gtsv_nopivot_strided_batch_pcr_pow2_shared_kernelILj2E21rocsparse_complex_numIfEEEviiiPKT0_S5_S5_PS3_.kd
    .uniform_work_group_size: 1
    .uses_dynamic_stack: false
    .vgpr_count:     32
    .vgpr_spill_count: 0
    .wavefront_size: 32
  - .args:
      - .offset:         0
        .size:           4
        .value_kind:     by_value
      - .offset:         4
        .size:           4
        .value_kind:     by_value
      - .offset:         8
        .size:           4
        .value_kind:     by_value
      - .actual_access:  read_only
        .address_space:  global
        .offset:         16
        .size:           8
        .value_kind:     global_buffer
      - .actual_access:  read_only
        .address_space:  global
        .offset:         24
        .size:           8
        .value_kind:     global_buffer
      - .actual_access:  read_only
        .address_space:  global
        .offset:         32
        .size:           8
        .value_kind:     global_buffer
      - .address_space:  global
        .offset:         40
        .size:           8
        .value_kind:     global_buffer
    .group_segment_fixed_size: 232
    .kernarg_segment_align: 8
    .kernarg_segment_size: 48
    .language:       OpenCL C
    .language_version:
      - 2
      - 0
    .max_flat_workgroup_size: 4
    .name:           _ZN9rocsparseL49gtsv_nopivot_strided_batch_pcr_pow2_shared_kernelILj4E21rocsparse_complex_numIfEEEviiiPKT0_S5_S5_PS3_
    .private_segment_fixed_size: 0
    .sgpr_count:     14
    .sgpr_spill_count: 0
    .symbol:         _ZN9rocsparseL49gtsv_nopivot_strided_batch_pcr_pow2_shared_kernelILj4E21rocsparse_complex_numIfEEEviiiPKT0_S5_S5_PS3_.kd
    .uniform_work_group_size: 1
    .uses_dynamic_stack: false
    .vgpr_count:     41
    .vgpr_spill_count: 0
    .wavefront_size: 32
  - .args:
      - .offset:         0
        .size:           4
        .value_kind:     by_value
      - .offset:         4
        .size:           4
        .value_kind:     by_value
      - .offset:         8
        .size:           4
        .value_kind:     by_value
      - .actual_access:  read_only
        .address_space:  global
        .offset:         16
        .size:           8
        .value_kind:     global_buffer
      - .actual_access:  read_only
        .address_space:  global
        .offset:         24
        .size:           8
        .value_kind:     global_buffer
      - .actual_access:  read_only
        .address_space:  global
        .offset:         32
        .size:           8
        .value_kind:     global_buffer
      - .address_space:  global
        .offset:         40
        .size:           8
        .value_kind:     global_buffer
    .group_segment_fixed_size: 392
    .kernarg_segment_align: 8
    .kernarg_segment_size: 48
    .language:       OpenCL C
    .language_version:
      - 2
      - 0
    .max_flat_workgroup_size: 8
    .name:           _ZN9rocsparseL49gtsv_nopivot_strided_batch_pcr_pow2_shared_kernelILj8E21rocsparse_complex_numIfEEEviiiPKT0_S5_S5_PS3_
    .private_segment_fixed_size: 0
    .sgpr_count:     14
    .sgpr_spill_count: 0
    .symbol:         _ZN9rocsparseL49gtsv_nopivot_strided_batch_pcr_pow2_shared_kernelILj8E21rocsparse_complex_numIfEEEviiiPKT0_S5_S5_PS3_.kd
    .uniform_work_group_size: 1
    .uses_dynamic_stack: false
    .vgpr_count:     42
    .vgpr_spill_count: 0
    .wavefront_size: 32
  - .args:
      - .offset:         0
        .size:           4
        .value_kind:     by_value
      - .offset:         4
        .size:           4
        .value_kind:     by_value
      - .offset:         8
        .size:           4
        .value_kind:     by_value
      - .actual_access:  read_only
        .address_space:  global
        .offset:         16
        .size:           8
        .value_kind:     global_buffer
      - .actual_access:  read_only
        .address_space:  global
        .offset:         24
        .size:           8
        .value_kind:     global_buffer
      - .actual_access:  read_only
        .address_space:  global
        .offset:         32
        .size:           8
        .value_kind:     global_buffer
      - .address_space:  global
        .offset:         40
        .size:           8
        .value_kind:     global_buffer
    .group_segment_fixed_size: 712
    .kernarg_segment_align: 8
    .kernarg_segment_size: 48
    .language:       OpenCL C
    .language_version:
      - 2
      - 0
    .max_flat_workgroup_size: 16
    .name:           _ZN9rocsparseL49gtsv_nopivot_strided_batch_pcr_pow2_shared_kernelILj16E21rocsparse_complex_numIfEEEviiiPKT0_S5_S5_PS3_
    .private_segment_fixed_size: 0
    .sgpr_count:     14
    .sgpr_spill_count: 0
    .symbol:         _ZN9rocsparseL49gtsv_nopivot_strided_batch_pcr_pow2_shared_kernelILj16E21rocsparse_complex_numIfEEEviiiPKT0_S5_S5_PS3_.kd
    .uniform_work_group_size: 1
    .uses_dynamic_stack: false
    .vgpr_count:     42
    .vgpr_spill_count: 0
    .wavefront_size: 32
  - .args:
      - .offset:         0
        .size:           4
        .value_kind:     by_value
      - .offset:         4
        .size:           4
        .value_kind:     by_value
      - .offset:         8
        .size:           4
        .value_kind:     by_value
      - .actual_access:  read_only
        .address_space:  global
        .offset:         16
        .size:           8
        .value_kind:     global_buffer
      - .actual_access:  read_only
        .address_space:  global
        .offset:         24
        .size:           8
        .value_kind:     global_buffer
      - .actual_access:  read_only
        .address_space:  global
        .offset:         32
        .size:           8
        .value_kind:     global_buffer
      - .address_space:  global
        .offset:         40
        .size:           8
        .value_kind:     global_buffer
    .group_segment_fixed_size: 1352
    .kernarg_segment_align: 8
    .kernarg_segment_size: 48
    .language:       OpenCL C
    .language_version:
      - 2
      - 0
    .max_flat_workgroup_size: 32
    .name:           _ZN9rocsparseL49gtsv_nopivot_strided_batch_pcr_pow2_shared_kernelILj32E21rocsparse_complex_numIfEEEviiiPKT0_S5_S5_PS3_
    .private_segment_fixed_size: 0
    .sgpr_count:     14
    .sgpr_spill_count: 0
    .symbol:         _ZN9rocsparseL49gtsv_nopivot_strided_batch_pcr_pow2_shared_kernelILj32E21rocsparse_complex_numIfEEEviiiPKT0_S5_S5_PS3_.kd
    .uniform_work_group_size: 1
    .uses_dynamic_stack: false
    .vgpr_count:     42
    .vgpr_spill_count: 0
    .wavefront_size: 32
  - .args:
      - .offset:         0
        .size:           4
        .value_kind:     by_value
      - .offset:         4
        .size:           4
        .value_kind:     by_value
      - .offset:         8
        .size:           4
        .value_kind:     by_value
      - .actual_access:  read_only
        .address_space:  global
        .offset:         16
        .size:           8
        .value_kind:     global_buffer
      - .actual_access:  read_only
        .address_space:  global
        .offset:         24
        .size:           8
        .value_kind:     global_buffer
      - .actual_access:  read_only
        .address_space:  global
        .offset:         32
        .size:           8
        .value_kind:     global_buffer
      - .address_space:  global
        .offset:         40
        .size:           8
        .value_kind:     global_buffer
    .group_segment_fixed_size: 2632
    .kernarg_segment_align: 8
    .kernarg_segment_size: 48
    .language:       OpenCL C
    .language_version:
      - 2
      - 0
    .max_flat_workgroup_size: 64
    .name:           _ZN9rocsparseL49gtsv_nopivot_strided_batch_pcr_pow2_shared_kernelILj64E21rocsparse_complex_numIfEEEviiiPKT0_S5_S5_PS3_
    .private_segment_fixed_size: 0
    .sgpr_count:     14
    .sgpr_spill_count: 0
    .symbol:         _ZN9rocsparseL49gtsv_nopivot_strided_batch_pcr_pow2_shared_kernelILj64E21rocsparse_complex_numIfEEEviiiPKT0_S5_S5_PS3_.kd
    .uniform_work_group_size: 1
    .uses_dynamic_stack: false
    .vgpr_count:     44
    .vgpr_spill_count: 0
    .wavefront_size: 32
  - .args:
      - .offset:         0
        .size:           4
        .value_kind:     by_value
      - .offset:         4
        .size:           4
        .value_kind:     by_value
      - .offset:         8
        .size:           4
        .value_kind:     by_value
      - .actual_access:  read_only
        .address_space:  global
        .offset:         16
        .size:           8
        .value_kind:     global_buffer
      - .actual_access:  read_only
        .address_space:  global
        .offset:         24
        .size:           8
        .value_kind:     global_buffer
      - .actual_access:  read_only
        .address_space:  global
        .offset:         32
        .size:           8
        .value_kind:     global_buffer
      - .address_space:  global
        .offset:         40
        .size:           8
        .value_kind:     global_buffer
    .group_segment_fixed_size: 7680
    .kernarg_segment_align: 8
    .kernarg_segment_size: 48
    .language:       OpenCL C
    .language_version:
      - 2
      - 0
    .max_flat_workgroup_size: 64
    .name:           _ZN9rocsparseL51gtsv_nopivot_strided_batch_crpcr_pow2_shared_kernelILj64ELj64E21rocsparse_complex_numIfEEEviiiPKT1_S5_S5_PS3_
    .private_segment_fixed_size: 0
    .sgpr_count:     15
    .sgpr_spill_count: 0
    .symbol:         _ZN9rocsparseL51gtsv_nopivot_strided_batch_crpcr_pow2_shared_kernelILj64ELj64E21rocsparse_complex_numIfEEEviiiPKT1_S5_S5_PS3_.kd
    .uniform_work_group_size: 1
    .uses_dynamic_stack: false
    .vgpr_count:     48
    .vgpr_spill_count: 0
    .wavefront_size: 32
  - .args:
      - .offset:         0
        .size:           4
        .value_kind:     by_value
      - .offset:         4
        .size:           4
        .value_kind:     by_value
      - .offset:         8
        .size:           4
        .value_kind:     by_value
      - .actual_access:  read_only
        .address_space:  global
        .offset:         16
        .size:           8
        .value_kind:     global_buffer
      - .actual_access:  read_only
        .address_space:  global
        .offset:         24
        .size:           8
        .value_kind:     global_buffer
      - .actual_access:  read_only
        .address_space:  global
        .offset:         32
        .size:           8
        .value_kind:     global_buffer
      - .address_space:  global
        .offset:         40
        .size:           8
        .value_kind:     global_buffer
    .group_segment_fixed_size: 12800
    .kernarg_segment_align: 8
    .kernarg_segment_size: 48
    .language:       OpenCL C
    .language_version:
      - 2
      - 0
    .max_flat_workgroup_size: 128
    .name:           _ZN9rocsparseL51gtsv_nopivot_strided_batch_crpcr_pow2_shared_kernelILj128ELj64E21rocsparse_complex_numIfEEEviiiPKT1_S5_S5_PS3_
    .private_segment_fixed_size: 0
    .sgpr_count:     15
    .sgpr_spill_count: 0
    .symbol:         _ZN9rocsparseL51gtsv_nopivot_strided_batch_crpcr_pow2_shared_kernelILj128ELj64E21rocsparse_complex_numIfEEEviiiPKT1_S5_S5_PS3_.kd
    .uniform_work_group_size: 1
    .uses_dynamic_stack: false
    .vgpr_count:     45
    .vgpr_spill_count: 0
    .wavefront_size: 32
  - .args:
      - .offset:         0
        .size:           4
        .value_kind:     by_value
      - .offset:         4
        .size:           4
        .value_kind:     by_value
      - .offset:         8
        .size:           4
        .value_kind:     by_value
      - .actual_access:  read_only
        .address_space:  global
        .offset:         16
        .size:           8
        .value_kind:     global_buffer
      - .actual_access:  read_only
        .address_space:  global
        .offset:         24
        .size:           8
        .value_kind:     global_buffer
      - .actual_access:  read_only
        .address_space:  global
        .offset:         32
        .size:           8
        .value_kind:     global_buffer
      - .address_space:  global
        .offset:         40
        .size:           8
        .value_kind:     global_buffer
    .group_segment_fixed_size: 23040
    .kernarg_segment_align: 8
    .kernarg_segment_size: 48
    .language:       OpenCL C
    .language_version:
      - 2
      - 0
    .max_flat_workgroup_size: 256
    .name:           _ZN9rocsparseL51gtsv_nopivot_strided_batch_crpcr_pow2_shared_kernelILj256ELj64E21rocsparse_complex_numIfEEEviiiPKT1_S5_S5_PS3_
    .private_segment_fixed_size: 0
    .sgpr_count:     15
    .sgpr_spill_count: 0
    .symbol:         _ZN9rocsparseL51gtsv_nopivot_strided_batch_crpcr_pow2_shared_kernelILj256ELj64E21rocsparse_complex_numIfEEEviiiPKT1_S5_S5_PS3_.kd
    .uniform_work_group_size: 1
    .uses_dynamic_stack: false
    .vgpr_count:     45
    .vgpr_spill_count: 0
    .wavefront_size: 32
  - .args:
      - .offset:         0
        .size:           4
        .value_kind:     by_value
      - .offset:         4
        .size:           4
        .value_kind:     by_value
      - .offset:         8
        .size:           4
        .value_kind:     by_value
      - .actual_access:  read_only
        .address_space:  global
        .offset:         16
        .size:           8
        .value_kind:     global_buffer
      - .actual_access:  read_only
        .address_space:  global
        .offset:         24
        .size:           8
        .value_kind:     global_buffer
      - .actual_access:  read_only
        .address_space:  global
        .offset:         32
        .size:           8
        .value_kind:     global_buffer
      - .address_space:  global
        .offset:         40
        .size:           8
        .value_kind:     global_buffer
    .group_segment_fixed_size: 160
    .kernarg_segment_align: 8
    .kernarg_segment_size: 48
    .language:       OpenCL C
    .language_version:
      - 2
      - 0
    .max_flat_workgroup_size: 4
    .name:           _ZN9rocsparseL44gtsv_nopivot_strided_batch_pcr_shared_kernelILj4E21rocsparse_complex_numIfEEEviiiPKT0_S5_S5_PS3_
    .private_segment_fixed_size: 0
    .sgpr_count:     10
    .sgpr_spill_count: 0
    .symbol:         _ZN9rocsparseL44gtsv_nopivot_strided_batch_pcr_shared_kernelILj4E21rocsparse_complex_numIfEEEviiiPKT0_S5_S5_PS3_.kd
    .uniform_work_group_size: 1
    .uses_dynamic_stack: false
    .vgpr_count:     41
    .vgpr_spill_count: 0
    .wavefront_size: 32
  - .args:
      - .offset:         0
        .size:           4
        .value_kind:     by_value
      - .offset:         4
        .size:           4
        .value_kind:     by_value
      - .offset:         8
        .size:           4
        .value_kind:     by_value
      - .actual_access:  read_only
        .address_space:  global
        .offset:         16
        .size:           8
        .value_kind:     global_buffer
      - .actual_access:  read_only
        .address_space:  global
        .offset:         24
        .size:           8
        .value_kind:     global_buffer
      - .actual_access:  read_only
        .address_space:  global
        .offset:         32
        .size:           8
        .value_kind:     global_buffer
      - .address_space:  global
        .offset:         40
        .size:           8
        .value_kind:     global_buffer
    .group_segment_fixed_size: 320
    .kernarg_segment_align: 8
    .kernarg_segment_size: 48
    .language:       OpenCL C
    .language_version:
      - 2
      - 0
    .max_flat_workgroup_size: 8
    .name:           _ZN9rocsparseL44gtsv_nopivot_strided_batch_pcr_shared_kernelILj8E21rocsparse_complex_numIfEEEviiiPKT0_S5_S5_PS3_
    .private_segment_fixed_size: 0
    .sgpr_count:     10
    .sgpr_spill_count: 0
    .symbol:         _ZN9rocsparseL44gtsv_nopivot_strided_batch_pcr_shared_kernelILj8E21rocsparse_complex_numIfEEEviiiPKT0_S5_S5_PS3_.kd
    .uniform_work_group_size: 1
    .uses_dynamic_stack: false
    .vgpr_count:     43
    .vgpr_spill_count: 0
    .wavefront_size: 32
  - .args:
      - .offset:         0
        .size:           4
        .value_kind:     by_value
      - .offset:         4
        .size:           4
        .value_kind:     by_value
      - .offset:         8
        .size:           4
        .value_kind:     by_value
      - .actual_access:  read_only
        .address_space:  global
        .offset:         16
        .size:           8
        .value_kind:     global_buffer
      - .actual_access:  read_only
        .address_space:  global
        .offset:         24
        .size:           8
        .value_kind:     global_buffer
      - .actual_access:  read_only
        .address_space:  global
        .offset:         32
        .size:           8
        .value_kind:     global_buffer
      - .address_space:  global
        .offset:         40
        .size:           8
        .value_kind:     global_buffer
    .group_segment_fixed_size: 640
    .kernarg_segment_align: 8
    .kernarg_segment_size: 48
    .language:       OpenCL C
    .language_version:
      - 2
      - 0
    .max_flat_workgroup_size: 16
    .name:           _ZN9rocsparseL44gtsv_nopivot_strided_batch_pcr_shared_kernelILj16E21rocsparse_complex_numIfEEEviiiPKT0_S5_S5_PS3_
    .private_segment_fixed_size: 0
    .sgpr_count:     10
    .sgpr_spill_count: 0
    .symbol:         _ZN9rocsparseL44gtsv_nopivot_strided_batch_pcr_shared_kernelILj16E21rocsparse_complex_numIfEEEviiiPKT0_S5_S5_PS3_.kd
    .uniform_work_group_size: 1
    .uses_dynamic_stack: false
    .vgpr_count:     43
    .vgpr_spill_count: 0
    .wavefront_size: 32
  - .args:
      - .offset:         0
        .size:           4
        .value_kind:     by_value
      - .offset:         4
        .size:           4
        .value_kind:     by_value
      - .offset:         8
        .size:           4
        .value_kind:     by_value
      - .actual_access:  read_only
        .address_space:  global
        .offset:         16
        .size:           8
        .value_kind:     global_buffer
      - .actual_access:  read_only
        .address_space:  global
        .offset:         24
        .size:           8
        .value_kind:     global_buffer
      - .actual_access:  read_only
        .address_space:  global
        .offset:         32
        .size:           8
        .value_kind:     global_buffer
      - .address_space:  global
        .offset:         40
        .size:           8
        .value_kind:     global_buffer
    .group_segment_fixed_size: 1280
    .kernarg_segment_align: 8
    .kernarg_segment_size: 48
    .language:       OpenCL C
    .language_version:
      - 2
      - 0
    .max_flat_workgroup_size: 32
    .name:           _ZN9rocsparseL44gtsv_nopivot_strided_batch_pcr_shared_kernelILj32E21rocsparse_complex_numIfEEEviiiPKT0_S5_S5_PS3_
    .private_segment_fixed_size: 0
    .sgpr_count:     10
    .sgpr_spill_count: 0
    .symbol:         _ZN9rocsparseL44gtsv_nopivot_strided_batch_pcr_shared_kernelILj32E21rocsparse_complex_numIfEEEviiiPKT0_S5_S5_PS3_.kd
    .uniform_work_group_size: 1
    .uses_dynamic_stack: false
    .vgpr_count:     43
    .vgpr_spill_count: 0
    .wavefront_size: 32
  - .args:
      - .offset:         0
        .size:           4
        .value_kind:     by_value
      - .offset:         4
        .size:           4
        .value_kind:     by_value
      - .offset:         8
        .size:           4
        .value_kind:     by_value
      - .actual_access:  read_only
        .address_space:  global
        .offset:         16
        .size:           8
        .value_kind:     global_buffer
      - .actual_access:  read_only
        .address_space:  global
        .offset:         24
        .size:           8
        .value_kind:     global_buffer
      - .actual_access:  read_only
        .address_space:  global
        .offset:         32
        .size:           8
        .value_kind:     global_buffer
      - .address_space:  global
        .offset:         40
        .size:           8
        .value_kind:     global_buffer
    .group_segment_fixed_size: 2560
    .kernarg_segment_align: 8
    .kernarg_segment_size: 48
    .language:       OpenCL C
    .language_version:
      - 2
      - 0
    .max_flat_workgroup_size: 64
    .name:           _ZN9rocsparseL44gtsv_nopivot_strided_batch_pcr_shared_kernelILj64E21rocsparse_complex_numIfEEEviiiPKT0_S5_S5_PS3_
    .private_segment_fixed_size: 0
    .sgpr_count:     10
    .sgpr_spill_count: 0
    .symbol:         _ZN9rocsparseL44gtsv_nopivot_strided_batch_pcr_shared_kernelILj64E21rocsparse_complex_numIfEEEviiiPKT0_S5_S5_PS3_.kd
    .uniform_work_group_size: 1
    .uses_dynamic_stack: false
    .vgpr_count:     43
    .vgpr_spill_count: 0
    .wavefront_size: 32
  - .args:
      - .offset:         0
        .size:           4
        .value_kind:     by_value
      - .offset:         4
        .size:           4
        .value_kind:     by_value
      - .offset:         8
        .size:           4
        .value_kind:     by_value
      - .actual_access:  read_only
        .address_space:  global
        .offset:         16
        .size:           8
        .value_kind:     global_buffer
      - .actual_access:  read_only
        .address_space:  global
        .offset:         24
        .size:           8
        .value_kind:     global_buffer
      - .actual_access:  read_only
        .address_space:  global
        .offset:         32
        .size:           8
        .value_kind:     global_buffer
      - .address_space:  global
        .offset:         40
        .size:           8
        .value_kind:     global_buffer
    .group_segment_fixed_size: 5120
    .kernarg_segment_align: 8
    .kernarg_segment_size: 48
    .language:       OpenCL C
    .language_version:
      - 2
      - 0
    .max_flat_workgroup_size: 128
    .name:           _ZN9rocsparseL44gtsv_nopivot_strided_batch_pcr_shared_kernelILj128E21rocsparse_complex_numIfEEEviiiPKT0_S5_S5_PS3_
    .private_segment_fixed_size: 0
    .sgpr_count:     10
    .sgpr_spill_count: 0
    .symbol:         _ZN9rocsparseL44gtsv_nopivot_strided_batch_pcr_shared_kernelILj128E21rocsparse_complex_numIfEEEviiiPKT0_S5_S5_PS3_.kd
    .uniform_work_group_size: 1
    .uses_dynamic_stack: false
    .vgpr_count:     43
    .vgpr_spill_count: 0
    .wavefront_size: 32
  - .args:
      - .offset:         0
        .size:           4
        .value_kind:     by_value
      - .offset:         4
        .size:           4
        .value_kind:     by_value
      - .offset:         8
        .size:           4
        .value_kind:     by_value
      - .actual_access:  read_only
        .address_space:  global
        .offset:         16
        .size:           8
        .value_kind:     global_buffer
      - .actual_access:  read_only
        .address_space:  global
        .offset:         24
        .size:           8
        .value_kind:     global_buffer
      - .actual_access:  read_only
        .address_space:  global
        .offset:         32
        .size:           8
        .value_kind:     global_buffer
      - .address_space:  global
        .offset:         40
        .size:           8
        .value_kind:     global_buffer
    .group_segment_fixed_size: 10240
    .kernarg_segment_align: 8
    .kernarg_segment_size: 48
    .language:       OpenCL C
    .language_version:
      - 2
      - 0
    .max_flat_workgroup_size: 256
    .name:           _ZN9rocsparseL44gtsv_nopivot_strided_batch_pcr_shared_kernelILj256E21rocsparse_complex_numIfEEEviiiPKT0_S5_S5_PS3_
    .private_segment_fixed_size: 0
    .sgpr_count:     10
    .sgpr_spill_count: 0
    .symbol:         _ZN9rocsparseL44gtsv_nopivot_strided_batch_pcr_shared_kernelILj256E21rocsparse_complex_numIfEEEviiiPKT0_S5_S5_PS3_.kd
    .uniform_work_group_size: 1
    .uses_dynamic_stack: false
    .vgpr_count:     45
    .vgpr_spill_count: 0
    .wavefront_size: 32
  - .args:
      - .offset:         0
        .size:           4
        .value_kind:     by_value
      - .offset:         4
        .size:           4
        .value_kind:     by_value
      - .offset:         8
        .size:           4
        .value_kind:     by_value
      - .actual_access:  read_only
        .address_space:  global
        .offset:         16
        .size:           8
        .value_kind:     global_buffer
      - .actual_access:  read_only
        .address_space:  global
        .offset:         24
        .size:           8
        .value_kind:     global_buffer
      - .actual_access:  read_only
        .address_space:  global
        .offset:         32
        .size:           8
        .value_kind:     global_buffer
      - .address_space:  global
        .offset:         40
        .size:           8
        .value_kind:     global_buffer
    .group_segment_fixed_size: 20480
    .kernarg_segment_align: 8
    .kernarg_segment_size: 48
    .language:       OpenCL C
    .language_version:
      - 2
      - 0
    .max_flat_workgroup_size: 512
    .name:           _ZN9rocsparseL44gtsv_nopivot_strided_batch_pcr_shared_kernelILj512E21rocsparse_complex_numIfEEEviiiPKT0_S5_S5_PS3_
    .private_segment_fixed_size: 0
    .sgpr_count:     10
    .sgpr_spill_count: 0
    .symbol:         _ZN9rocsparseL44gtsv_nopivot_strided_batch_pcr_shared_kernelILj512E21rocsparse_complex_numIfEEEviiiPKT0_S5_S5_PS3_.kd
    .uniform_work_group_size: 1
    .uses_dynamic_stack: false
    .vgpr_count:     45
    .vgpr_spill_count: 0
    .wavefront_size: 32
  - .args:
      - .offset:         0
        .size:           4
        .value_kind:     by_value
      - .offset:         4
        .size:           4
        .value_kind:     by_value
      - .offset:         8
        .size:           4
        .value_kind:     by_value
      - .offset:         12
        .size:           4
        .value_kind:     by_value
      - .actual_access:  read_only
        .address_space:  global
        .offset:         16
        .size:           8
        .value_kind:     global_buffer
      - .actual_access:  read_only
        .address_space:  global
        .offset:         24
        .size:           8
        .value_kind:     global_buffer
      - .actual_access:  read_only
        .address_space:  global
        .offset:         32
        .size:           8
        .value_kind:     global_buffer
      - .actual_access:  read_only
        .address_space:  global
        .offset:         40
        .size:           8
        .value_kind:     global_buffer
      - .actual_access:  write_only
        .address_space:  global
        .offset:         48
        .size:           8
        .value_kind:     global_buffer
      - .actual_access:  write_only
        .address_space:  global
        .offset:         56
        .size:           8
        .value_kind:     global_buffer
      - .actual_access:  write_only
        .address_space:  global
        .offset:         64
        .size:           8
        .value_kind:     global_buffer
      - .actual_access:  write_only
        .address_space:  global
        .offset:         72
        .size:           8
        .value_kind:     global_buffer
    .group_segment_fixed_size: 0
    .kernarg_segment_align: 8
    .kernarg_segment_size: 80
    .language:       OpenCL C
    .language_version:
      - 2
      - 0
    .max_flat_workgroup_size: 256
    .name:           _ZN9rocsparseL49gtsv_nopivot_strided_batch_pcr_pow2_stage1_kernelILj256E21rocsparse_complex_numIfEEEviiiiPKT0_S5_S5_S5_PS3_S6_S6_S6_
    .private_segment_fixed_size: 0
    .sgpr_count:     20
    .sgpr_spill_count: 0
    .symbol:         _ZN9rocsparseL49gtsv_nopivot_strided_batch_pcr_pow2_stage1_kernelILj256E21rocsparse_complex_numIfEEEviiiiPKT0_S5_S5_S5_PS3_S6_S6_S6_.kd
    .uniform_work_group_size: 1
    .uses_dynamic_stack: false
    .vgpr_count:     37
    .vgpr_spill_count: 0
    .wavefront_size: 32
  - .args:
      - .offset:         0
        .size:           4
        .value_kind:     by_value
      - .offset:         4
        .size:           4
        .value_kind:     by_value
      - .offset:         8
        .size:           4
        .value_kind:     by_value
      - .actual_access:  read_only
        .address_space:  global
        .offset:         16
        .size:           8
        .value_kind:     global_buffer
      - .actual_access:  read_only
        .address_space:  global
        .offset:         24
        .size:           8
        .value_kind:     global_buffer
      - .actual_access:  read_only
        .address_space:  global
        .offset:         32
        .size:           8
        .value_kind:     global_buffer
      - .actual_access:  read_only
        .address_space:  global
        .offset:         40
        .size:           8
        .value_kind:     global_buffer
      - .actual_access:  write_only
        .address_space:  global
        .offset:         48
        .size:           8
        .value_kind:     global_buffer
      - .offset:         56
        .size:           4
        .value_kind:     hidden_block_count_x
      - .offset:         60
        .size:           4
        .value_kind:     hidden_block_count_y
      - .offset:         64
        .size:           4
        .value_kind:     hidden_block_count_z
      - .offset:         68
        .size:           2
        .value_kind:     hidden_group_size_x
      - .offset:         70
        .size:           2
        .value_kind:     hidden_group_size_y
      - .offset:         72
        .size:           2
        .value_kind:     hidden_group_size_z
      - .offset:         74
        .size:           2
        .value_kind:     hidden_remainder_x
      - .offset:         76
        .size:           2
        .value_kind:     hidden_remainder_y
      - .offset:         78
        .size:           2
        .value_kind:     hidden_remainder_z
      - .offset:         96
        .size:           8
        .value_kind:     hidden_global_offset_x
      - .offset:         104
        .size:           8
        .value_kind:     hidden_global_offset_y
      - .offset:         112
        .size:           8
        .value_kind:     hidden_global_offset_z
      - .offset:         120
        .size:           2
        .value_kind:     hidden_grid_dims
    .group_segment_fixed_size: 20480
    .kernarg_segment_align: 8
    .kernarg_segment_size: 312
    .language:       OpenCL C
    .language_version:
      - 2
      - 0
    .max_flat_workgroup_size: 256
    .name:           _ZN9rocsparseL48gtsv_nopivot_strided_batch_cr_pow2_stage2_kernelILj256E21rocsparse_complex_numIfEEEviiiPKT0_S5_S5_S5_PS3_
    .private_segment_fixed_size: 0
    .sgpr_count:     22
    .sgpr_spill_count: 0
    .symbol:         _ZN9rocsparseL48gtsv_nopivot_strided_batch_cr_pow2_stage2_kernelILj256E21rocsparse_complex_numIfEEEviiiPKT0_S5_S5_S5_PS3_.kd
    .uniform_work_group_size: 1
    .uses_dynamic_stack: false
    .vgpr_count:     43
    .vgpr_spill_count: 0
    .wavefront_size: 32
  - .args:
      - .offset:         0
        .size:           4
        .value_kind:     by_value
      - .offset:         4
        .size:           4
        .value_kind:     by_value
      - .offset:         8
        .size:           4
        .value_kind:     by_value
      - .offset:         12
        .size:           4
        .value_kind:     by_value
      - .actual_access:  read_only
        .address_space:  global
        .offset:         16
        .size:           8
        .value_kind:     global_buffer
      - .actual_access:  read_only
        .address_space:  global
        .offset:         24
        .size:           8
        .value_kind:     global_buffer
      - .actual_access:  read_only
        .address_space:  global
        .offset:         32
        .size:           8
        .value_kind:     global_buffer
      - .actual_access:  read_only
        .address_space:  global
        .offset:         40
        .size:           8
        .value_kind:     global_buffer
      - .actual_access:  write_only
        .address_space:  global
        .offset:         48
        .size:           8
        .value_kind:     global_buffer
      - .actual_access:  write_only
        .address_space:  global
        .offset:         56
        .size:           8
        .value_kind:     global_buffer
      - .actual_access:  write_only
        .address_space:  global
        .offset:         64
        .size:           8
        .value_kind:     global_buffer
      - .actual_access:  write_only
        .address_space:  global
        .offset:         72
        .size:           8
        .value_kind:     global_buffer
    .group_segment_fixed_size: 0
    .kernarg_segment_align: 8
    .kernarg_segment_size: 80
    .language:       OpenCL C
    .language_version:
      - 2
      - 0
    .max_flat_workgroup_size: 256
    .name:           _ZN9rocsparseL44gtsv_nopivot_strided_batch_pcr_stage1_kernelILj256E21rocsparse_complex_numIfEEEviiiiPKT0_S5_S5_S5_PS3_S6_S6_S6_
    .private_segment_fixed_size: 0
    .sgpr_count:     18
    .sgpr_spill_count: 0
    .symbol:         _ZN9rocsparseL44gtsv_nopivot_strided_batch_pcr_stage1_kernelILj256E21rocsparse_complex_numIfEEEviiiiPKT0_S5_S5_S5_PS3_S6_S6_S6_.kd
    .uniform_work_group_size: 1
    .uses_dynamic_stack: false
    .vgpr_count:     37
    .vgpr_spill_count: 0
    .wavefront_size: 32
  - .args:
      - .offset:         0
        .size:           4
        .value_kind:     by_value
      - .offset:         4
        .size:           4
        .value_kind:     by_value
      - .offset:         8
        .size:           4
        .value_kind:     by_value
      - .actual_access:  read_only
        .address_space:  global
        .offset:         16
        .size:           8
        .value_kind:     global_buffer
      - .actual_access:  read_only
        .address_space:  global
        .offset:         24
        .size:           8
        .value_kind:     global_buffer
      - .actual_access:  read_only
        .address_space:  global
        .offset:         32
        .size:           8
        .value_kind:     global_buffer
      - .actual_access:  read_only
        .address_space:  global
        .offset:         40
        .size:           8
        .value_kind:     global_buffer
      - .actual_access:  write_only
        .address_space:  global
        .offset:         48
        .size:           8
        .value_kind:     global_buffer
      - .offset:         56
        .size:           4
        .value_kind:     hidden_block_count_x
      - .offset:         60
        .size:           4
        .value_kind:     hidden_block_count_y
      - .offset:         64
        .size:           4
        .value_kind:     hidden_block_count_z
      - .offset:         68
        .size:           2
        .value_kind:     hidden_group_size_x
      - .offset:         70
        .size:           2
        .value_kind:     hidden_group_size_y
      - .offset:         72
        .size:           2
        .value_kind:     hidden_group_size_z
      - .offset:         74
        .size:           2
        .value_kind:     hidden_remainder_x
      - .offset:         76
        .size:           2
        .value_kind:     hidden_remainder_y
      - .offset:         78
        .size:           2
        .value_kind:     hidden_remainder_z
      - .offset:         96
        .size:           8
        .value_kind:     hidden_global_offset_x
      - .offset:         104
        .size:           8
        .value_kind:     hidden_global_offset_y
      - .offset:         112
        .size:           8
        .value_kind:     hidden_global_offset_z
      - .offset:         120
        .size:           2
        .value_kind:     hidden_grid_dims
    .group_segment_fixed_size: 20480
    .kernarg_segment_align: 8
    .kernarg_segment_size: 312
    .language:       OpenCL C
    .language_version:
      - 2
      - 0
    .max_flat_workgroup_size: 512
    .name:           _ZN9rocsparseL44gtsv_nopivot_strided_batch_pcr_stage2_kernelILj512E21rocsparse_complex_numIfEEEviiiPKT0_S5_S5_S5_PS3_
    .private_segment_fixed_size: 0
    .sgpr_count:     19
    .sgpr_spill_count: 0
    .symbol:         _ZN9rocsparseL44gtsv_nopivot_strided_batch_pcr_stage2_kernelILj512E21rocsparse_complex_numIfEEEviiiPKT0_S5_S5_S5_PS3_.kd
    .uniform_work_group_size: 1
    .uses_dynamic_stack: false
    .vgpr_count:     43
    .vgpr_spill_count: 0
    .wavefront_size: 32
  - .args:
      - .offset:         0
        .size:           4
        .value_kind:     by_value
      - .offset:         4
        .size:           4
        .value_kind:     by_value
      - .offset:         8
        .size:           4
        .value_kind:     by_value
      - .actual_access:  read_only
        .address_space:  global
        .offset:         16
        .size:           8
        .value_kind:     global_buffer
      - .actual_access:  read_only
        .address_space:  global
        .offset:         24
        .size:           8
        .value_kind:     global_buffer
      - .actual_access:  read_only
        .address_space:  global
        .offset:         32
        .size:           8
        .value_kind:     global_buffer
      - .address_space:  global
        .offset:         40
        .size:           8
        .value_kind:     global_buffer
    .group_segment_fixed_size: 240
    .kernarg_segment_align: 8
    .kernarg_segment_size: 48
    .language:       OpenCL C
    .language_version:
      - 2
      - 0
    .max_flat_workgroup_size: 2
    .name:           _ZN9rocsparseL49gtsv_nopivot_strided_batch_pcr_pow2_shared_kernelILj2E21rocsparse_complex_numIdEEEviiiPKT0_S5_S5_PS3_
    .private_segment_fixed_size: 0
    .sgpr_count:     14
    .sgpr_spill_count: 0
    .symbol:         _ZN9rocsparseL49gtsv_nopivot_strided_batch_pcr_pow2_shared_kernelILj2E21rocsparse_complex_numIdEEEviiiPKT0_S5_S5_PS3_.kd
    .uniform_work_group_size: 1
    .uses_dynamic_stack: false
    .vgpr_count:     50
    .vgpr_spill_count: 0
    .wavefront_size: 32
  - .args:
      - .offset:         0
        .size:           4
        .value_kind:     by_value
      - .offset:         4
        .size:           4
        .value_kind:     by_value
      - .offset:         8
        .size:           4
        .value_kind:     by_value
      - .actual_access:  read_only
        .address_space:  global
        .offset:         16
        .size:           8
        .value_kind:     global_buffer
      - .actual_access:  read_only
        .address_space:  global
        .offset:         24
        .size:           8
        .value_kind:     global_buffer
      - .actual_access:  read_only
        .address_space:  global
        .offset:         32
        .size:           8
        .value_kind:     global_buffer
      - .address_space:  global
        .offset:         40
        .size:           8
        .value_kind:     global_buffer
    .group_segment_fixed_size: 400
    .kernarg_segment_align: 8
    .kernarg_segment_size: 48
    .language:       OpenCL C
    .language_version:
      - 2
      - 0
    .max_flat_workgroup_size: 4
    .name:           _ZN9rocsparseL49gtsv_nopivot_strided_batch_pcr_pow2_shared_kernelILj4E21rocsparse_complex_numIdEEEviiiPKT0_S5_S5_PS3_
    .private_segment_fixed_size: 0
    .sgpr_count:     14
    .sgpr_spill_count: 0
    .symbol:         _ZN9rocsparseL49gtsv_nopivot_strided_batch_pcr_pow2_shared_kernelILj4E21rocsparse_complex_numIdEEEviiiPKT0_S5_S5_PS3_.kd
    .uniform_work_group_size: 1
    .uses_dynamic_stack: false
    .vgpr_count:     62
    .vgpr_spill_count: 0
    .wavefront_size: 32
  - .args:
      - .offset:         0
        .size:           4
        .value_kind:     by_value
      - .offset:         4
        .size:           4
        .value_kind:     by_value
      - .offset:         8
        .size:           4
        .value_kind:     by_value
      - .actual_access:  read_only
        .address_space:  global
        .offset:         16
        .size:           8
        .value_kind:     global_buffer
      - .actual_access:  read_only
        .address_space:  global
        .offset:         24
        .size:           8
        .value_kind:     global_buffer
      - .actual_access:  read_only
        .address_space:  global
        .offset:         32
        .size:           8
        .value_kind:     global_buffer
      - .address_space:  global
        .offset:         40
        .size:           8
        .value_kind:     global_buffer
    .group_segment_fixed_size: 720
    .kernarg_segment_align: 8
    .kernarg_segment_size: 48
    .language:       OpenCL C
    .language_version:
      - 2
      - 0
    .max_flat_workgroup_size: 8
    .name:           _ZN9rocsparseL49gtsv_nopivot_strided_batch_pcr_pow2_shared_kernelILj8E21rocsparse_complex_numIdEEEviiiPKT0_S5_S5_PS3_
    .private_segment_fixed_size: 0
    .sgpr_count:     14
    .sgpr_spill_count: 0
    .symbol:         _ZN9rocsparseL49gtsv_nopivot_strided_batch_pcr_pow2_shared_kernelILj8E21rocsparse_complex_numIdEEEviiiPKT0_S5_S5_PS3_.kd
    .uniform_work_group_size: 1
    .uses_dynamic_stack: false
    .vgpr_count:     62
    .vgpr_spill_count: 0
    .wavefront_size: 32
  - .args:
      - .offset:         0
        .size:           4
        .value_kind:     by_value
      - .offset:         4
        .size:           4
        .value_kind:     by_value
      - .offset:         8
        .size:           4
        .value_kind:     by_value
      - .actual_access:  read_only
        .address_space:  global
        .offset:         16
        .size:           8
        .value_kind:     global_buffer
      - .actual_access:  read_only
        .address_space:  global
        .offset:         24
        .size:           8
        .value_kind:     global_buffer
      - .actual_access:  read_only
        .address_space:  global
        .offset:         32
        .size:           8
        .value_kind:     global_buffer
      - .address_space:  global
        .offset:         40
        .size:           8
        .value_kind:     global_buffer
    .group_segment_fixed_size: 1360
    .kernarg_segment_align: 8
    .kernarg_segment_size: 48
    .language:       OpenCL C
    .language_version:
      - 2
      - 0
    .max_flat_workgroup_size: 16
    .name:           _ZN9rocsparseL49gtsv_nopivot_strided_batch_pcr_pow2_shared_kernelILj16E21rocsparse_complex_numIdEEEviiiPKT0_S5_S5_PS3_
    .private_segment_fixed_size: 0
    .sgpr_count:     14
    .sgpr_spill_count: 0
    .symbol:         _ZN9rocsparseL49gtsv_nopivot_strided_batch_pcr_pow2_shared_kernelILj16E21rocsparse_complex_numIdEEEviiiPKT0_S5_S5_PS3_.kd
    .uniform_work_group_size: 1
    .uses_dynamic_stack: false
    .vgpr_count:     62
    .vgpr_spill_count: 0
    .wavefront_size: 32
  - .args:
      - .offset:         0
        .size:           4
        .value_kind:     by_value
      - .offset:         4
        .size:           4
        .value_kind:     by_value
      - .offset:         8
        .size:           4
        .value_kind:     by_value
      - .actual_access:  read_only
        .address_space:  global
        .offset:         16
        .size:           8
        .value_kind:     global_buffer
      - .actual_access:  read_only
        .address_space:  global
        .offset:         24
        .size:           8
        .value_kind:     global_buffer
      - .actual_access:  read_only
        .address_space:  global
        .offset:         32
        .size:           8
        .value_kind:     global_buffer
      - .address_space:  global
        .offset:         40
        .size:           8
        .value_kind:     global_buffer
    .group_segment_fixed_size: 2640
    .kernarg_segment_align: 8
    .kernarg_segment_size: 48
    .language:       OpenCL C
    .language_version:
      - 2
      - 0
    .max_flat_workgroup_size: 32
    .name:           _ZN9rocsparseL49gtsv_nopivot_strided_batch_pcr_pow2_shared_kernelILj32E21rocsparse_complex_numIdEEEviiiPKT0_S5_S5_PS3_
    .private_segment_fixed_size: 0
    .sgpr_count:     14
    .sgpr_spill_count: 0
    .symbol:         _ZN9rocsparseL49gtsv_nopivot_strided_batch_pcr_pow2_shared_kernelILj32E21rocsparse_complex_numIdEEEviiiPKT0_S5_S5_PS3_.kd
    .uniform_work_group_size: 1
    .uses_dynamic_stack: false
    .vgpr_count:     62
    .vgpr_spill_count: 0
    .wavefront_size: 32
  - .args:
      - .offset:         0
        .size:           4
        .value_kind:     by_value
      - .offset:         4
        .size:           4
        .value_kind:     by_value
      - .offset:         8
        .size:           4
        .value_kind:     by_value
      - .actual_access:  read_only
        .address_space:  global
        .offset:         16
        .size:           8
        .value_kind:     global_buffer
      - .actual_access:  read_only
        .address_space:  global
        .offset:         24
        .size:           8
        .value_kind:     global_buffer
      - .actual_access:  read_only
        .address_space:  global
        .offset:         32
        .size:           8
        .value_kind:     global_buffer
      - .address_space:  global
        .offset:         40
        .size:           8
        .value_kind:     global_buffer
    .group_segment_fixed_size: 5200
    .kernarg_segment_align: 8
    .kernarg_segment_size: 48
    .language:       OpenCL C
    .language_version:
      - 2
      - 0
    .max_flat_workgroup_size: 64
    .name:           _ZN9rocsparseL49gtsv_nopivot_strided_batch_pcr_pow2_shared_kernelILj64E21rocsparse_complex_numIdEEEviiiPKT0_S5_S5_PS3_
    .private_segment_fixed_size: 0
    .sgpr_count:     14
    .sgpr_spill_count: 0
    .symbol:         _ZN9rocsparseL49gtsv_nopivot_strided_batch_pcr_pow2_shared_kernelILj64E21rocsparse_complex_numIdEEEviiiPKT0_S5_S5_PS3_.kd
    .uniform_work_group_size: 1
    .uses_dynamic_stack: false
    .vgpr_count:     62
    .vgpr_spill_count: 0
    .wavefront_size: 32
  - .args:
      - .offset:         0
        .size:           4
        .value_kind:     by_value
      - .offset:         4
        .size:           4
        .value_kind:     by_value
      - .offset:         8
        .size:           4
        .value_kind:     by_value
      - .actual_access:  read_only
        .address_space:  global
        .offset:         16
        .size:           8
        .value_kind:     global_buffer
      - .actual_access:  read_only
        .address_space:  global
        .offset:         24
        .size:           8
        .value_kind:     global_buffer
      - .actual_access:  read_only
        .address_space:  global
        .offset:         32
        .size:           8
        .value_kind:     global_buffer
      - .address_space:  global
        .offset:         40
        .size:           8
        .value_kind:     global_buffer
    .group_segment_fixed_size: 15360
    .kernarg_segment_align: 8
    .kernarg_segment_size: 48
    .language:       OpenCL C
    .language_version:
      - 2
      - 0
    .max_flat_workgroup_size: 64
    .name:           _ZN9rocsparseL51gtsv_nopivot_strided_batch_crpcr_pow2_shared_kernelILj64ELj64E21rocsparse_complex_numIdEEEviiiPKT1_S5_S5_PS3_
    .private_segment_fixed_size: 0
    .sgpr_count:     15
    .sgpr_spill_count: 0
    .symbol:         _ZN9rocsparseL51gtsv_nopivot_strided_batch_crpcr_pow2_shared_kernelILj64ELj64E21rocsparse_complex_numIdEEEviiiPKT1_S5_S5_PS3_.kd
    .uniform_work_group_size: 1
    .uses_dynamic_stack: false
    .vgpr_count:     62
    .vgpr_spill_count: 0
    .wavefront_size: 32
  - .args:
      - .offset:         0
        .size:           4
        .value_kind:     by_value
      - .offset:         4
        .size:           4
        .value_kind:     by_value
      - .offset:         8
        .size:           4
        .value_kind:     by_value
      - .actual_access:  read_only
        .address_space:  global
        .offset:         16
        .size:           8
        .value_kind:     global_buffer
      - .actual_access:  read_only
        .address_space:  global
        .offset:         24
        .size:           8
        .value_kind:     global_buffer
      - .actual_access:  read_only
        .address_space:  global
        .offset:         32
        .size:           8
        .value_kind:     global_buffer
      - .address_space:  global
        .offset:         40
        .size:           8
        .value_kind:     global_buffer
    .group_segment_fixed_size: 25600
    .kernarg_segment_align: 8
    .kernarg_segment_size: 48
    .language:       OpenCL C
    .language_version:
      - 2
      - 0
    .max_flat_workgroup_size: 128
    .name:           _ZN9rocsparseL51gtsv_nopivot_strided_batch_crpcr_pow2_shared_kernelILj128ELj64E21rocsparse_complex_numIdEEEviiiPKT1_S5_S5_PS3_
    .private_segment_fixed_size: 0
    .sgpr_count:     16
    .sgpr_spill_count: 0
    .symbol:         _ZN9rocsparseL51gtsv_nopivot_strided_batch_crpcr_pow2_shared_kernelILj128ELj64E21rocsparse_complex_numIdEEEviiiPKT1_S5_S5_PS3_.kd
    .uniform_work_group_size: 1
    .uses_dynamic_stack: false
    .vgpr_count:     66
    .vgpr_spill_count: 0
    .wavefront_size: 32
  - .args:
      - .offset:         0
        .size:           4
        .value_kind:     by_value
      - .offset:         4
        .size:           4
        .value_kind:     by_value
      - .offset:         8
        .size:           4
        .value_kind:     by_value
      - .actual_access:  read_only
        .address_space:  global
        .offset:         16
        .size:           8
        .value_kind:     global_buffer
      - .actual_access:  read_only
        .address_space:  global
        .offset:         24
        .size:           8
        .value_kind:     global_buffer
      - .actual_access:  read_only
        .address_space:  global
        .offset:         32
        .size:           8
        .value_kind:     global_buffer
      - .address_space:  global
        .offset:         40
        .size:           8
        .value_kind:     global_buffer
    .group_segment_fixed_size: 46080
    .kernarg_segment_align: 8
    .kernarg_segment_size: 48
    .language:       OpenCL C
    .language_version:
      - 2
      - 0
    .max_flat_workgroup_size: 256
    .name:           _ZN9rocsparseL51gtsv_nopivot_strided_batch_crpcr_pow2_shared_kernelILj256ELj64E21rocsparse_complex_numIdEEEviiiPKT1_S5_S5_PS3_
    .private_segment_fixed_size: 0
    .sgpr_count:     16
    .sgpr_spill_count: 0
    .symbol:         _ZN9rocsparseL51gtsv_nopivot_strided_batch_crpcr_pow2_shared_kernelILj256ELj64E21rocsparse_complex_numIdEEEviiiPKT1_S5_S5_PS3_.kd
    .uniform_work_group_size: 1
    .uses_dynamic_stack: false
    .vgpr_count:     66
    .vgpr_spill_count: 0
    .wavefront_size: 32
  - .args:
      - .offset:         0
        .size:           4
        .value_kind:     by_value
      - .offset:         4
        .size:           4
        .value_kind:     by_value
      - .offset:         8
        .size:           4
        .value_kind:     by_value
      - .actual_access:  read_only
        .address_space:  global
        .offset:         16
        .size:           8
        .value_kind:     global_buffer
      - .actual_access:  read_only
        .address_space:  global
        .offset:         24
        .size:           8
        .value_kind:     global_buffer
      - .actual_access:  read_only
        .address_space:  global
        .offset:         32
        .size:           8
        .value_kind:     global_buffer
      - .address_space:  global
        .offset:         40
        .size:           8
        .value_kind:     global_buffer
    .group_segment_fixed_size: 320
    .kernarg_segment_align: 8
    .kernarg_segment_size: 48
    .language:       OpenCL C
    .language_version:
      - 2
      - 0
    .max_flat_workgroup_size: 4
    .name:           _ZN9rocsparseL44gtsv_nopivot_strided_batch_pcr_shared_kernelILj4E21rocsparse_complex_numIdEEEviiiPKT0_S5_S5_PS3_
    .private_segment_fixed_size: 0
    .sgpr_count:     10
    .sgpr_spill_count: 0
    .symbol:         _ZN9rocsparseL44gtsv_nopivot_strided_batch_pcr_shared_kernelILj4E21rocsparse_complex_numIdEEEviiiPKT0_S5_S5_PS3_.kd
    .uniform_work_group_size: 1
    .uses_dynamic_stack: false
    .vgpr_count:     62
    .vgpr_spill_count: 0
    .wavefront_size: 32
  - .args:
      - .offset:         0
        .size:           4
        .value_kind:     by_value
      - .offset:         4
        .size:           4
        .value_kind:     by_value
      - .offset:         8
        .size:           4
        .value_kind:     by_value
      - .actual_access:  read_only
        .address_space:  global
        .offset:         16
        .size:           8
        .value_kind:     global_buffer
      - .actual_access:  read_only
        .address_space:  global
        .offset:         24
        .size:           8
        .value_kind:     global_buffer
      - .actual_access:  read_only
        .address_space:  global
        .offset:         32
        .size:           8
        .value_kind:     global_buffer
      - .address_space:  global
        .offset:         40
        .size:           8
        .value_kind:     global_buffer
    .group_segment_fixed_size: 640
    .kernarg_segment_align: 8
    .kernarg_segment_size: 48
    .language:       OpenCL C
    .language_version:
      - 2
      - 0
    .max_flat_workgroup_size: 8
    .name:           _ZN9rocsparseL44gtsv_nopivot_strided_batch_pcr_shared_kernelILj8E21rocsparse_complex_numIdEEEviiiPKT0_S5_S5_PS3_
    .private_segment_fixed_size: 0
    .sgpr_count:     10
    .sgpr_spill_count: 0
    .symbol:         _ZN9rocsparseL44gtsv_nopivot_strided_batch_pcr_shared_kernelILj8E21rocsparse_complex_numIdEEEviiiPKT0_S5_S5_PS3_.kd
    .uniform_work_group_size: 1
    .uses_dynamic_stack: false
    .vgpr_count:     62
    .vgpr_spill_count: 0
    .wavefront_size: 32
  - .args:
      - .offset:         0
        .size:           4
        .value_kind:     by_value
      - .offset:         4
        .size:           4
        .value_kind:     by_value
      - .offset:         8
        .size:           4
        .value_kind:     by_value
      - .actual_access:  read_only
        .address_space:  global
        .offset:         16
        .size:           8
        .value_kind:     global_buffer
      - .actual_access:  read_only
        .address_space:  global
        .offset:         24
        .size:           8
        .value_kind:     global_buffer
      - .actual_access:  read_only
        .address_space:  global
        .offset:         32
        .size:           8
        .value_kind:     global_buffer
      - .address_space:  global
        .offset:         40
        .size:           8
        .value_kind:     global_buffer
    .group_segment_fixed_size: 1280
    .kernarg_segment_align: 8
    .kernarg_segment_size: 48
    .language:       OpenCL C
    .language_version:
      - 2
      - 0
    .max_flat_workgroup_size: 16
    .name:           _ZN9rocsparseL44gtsv_nopivot_strided_batch_pcr_shared_kernelILj16E21rocsparse_complex_numIdEEEviiiPKT0_S5_S5_PS3_
    .private_segment_fixed_size: 0
    .sgpr_count:     10
    .sgpr_spill_count: 0
    .symbol:         _ZN9rocsparseL44gtsv_nopivot_strided_batch_pcr_shared_kernelILj16E21rocsparse_complex_numIdEEEviiiPKT0_S5_S5_PS3_.kd
    .uniform_work_group_size: 1
    .uses_dynamic_stack: false
    .vgpr_count:     62
    .vgpr_spill_count: 0
    .wavefront_size: 32
  - .args:
      - .offset:         0
        .size:           4
        .value_kind:     by_value
      - .offset:         4
        .size:           4
        .value_kind:     by_value
      - .offset:         8
        .size:           4
        .value_kind:     by_value
      - .actual_access:  read_only
        .address_space:  global
        .offset:         16
        .size:           8
        .value_kind:     global_buffer
      - .actual_access:  read_only
        .address_space:  global
        .offset:         24
        .size:           8
        .value_kind:     global_buffer
      - .actual_access:  read_only
        .address_space:  global
        .offset:         32
        .size:           8
        .value_kind:     global_buffer
      - .address_space:  global
        .offset:         40
        .size:           8
        .value_kind:     global_buffer
    .group_segment_fixed_size: 2560
    .kernarg_segment_align: 8
    .kernarg_segment_size: 48
    .language:       OpenCL C
    .language_version:
      - 2
      - 0
    .max_flat_workgroup_size: 32
    .name:           _ZN9rocsparseL44gtsv_nopivot_strided_batch_pcr_shared_kernelILj32E21rocsparse_complex_numIdEEEviiiPKT0_S5_S5_PS3_
    .private_segment_fixed_size: 0
    .sgpr_count:     10
    .sgpr_spill_count: 0
    .symbol:         _ZN9rocsparseL44gtsv_nopivot_strided_batch_pcr_shared_kernelILj32E21rocsparse_complex_numIdEEEviiiPKT0_S5_S5_PS3_.kd
    .uniform_work_group_size: 1
    .uses_dynamic_stack: false
    .vgpr_count:     62
    .vgpr_spill_count: 0
    .wavefront_size: 32
  - .args:
      - .offset:         0
        .size:           4
        .value_kind:     by_value
      - .offset:         4
        .size:           4
        .value_kind:     by_value
      - .offset:         8
        .size:           4
        .value_kind:     by_value
      - .actual_access:  read_only
        .address_space:  global
        .offset:         16
        .size:           8
        .value_kind:     global_buffer
      - .actual_access:  read_only
        .address_space:  global
        .offset:         24
        .size:           8
        .value_kind:     global_buffer
      - .actual_access:  read_only
        .address_space:  global
        .offset:         32
        .size:           8
        .value_kind:     global_buffer
      - .address_space:  global
        .offset:         40
        .size:           8
        .value_kind:     global_buffer
    .group_segment_fixed_size: 5120
    .kernarg_segment_align: 8
    .kernarg_segment_size: 48
    .language:       OpenCL C
    .language_version:
      - 2
      - 0
    .max_flat_workgroup_size: 64
    .name:           _ZN9rocsparseL44gtsv_nopivot_strided_batch_pcr_shared_kernelILj64E21rocsparse_complex_numIdEEEviiiPKT0_S5_S5_PS3_
    .private_segment_fixed_size: 0
    .sgpr_count:     10
    .sgpr_spill_count: 0
    .symbol:         _ZN9rocsparseL44gtsv_nopivot_strided_batch_pcr_shared_kernelILj64E21rocsparse_complex_numIdEEEviiiPKT0_S5_S5_PS3_.kd
    .uniform_work_group_size: 1
    .uses_dynamic_stack: false
    .vgpr_count:     62
    .vgpr_spill_count: 0
    .wavefront_size: 32
  - .args:
      - .offset:         0
        .size:           4
        .value_kind:     by_value
      - .offset:         4
        .size:           4
        .value_kind:     by_value
      - .offset:         8
        .size:           4
        .value_kind:     by_value
      - .actual_access:  read_only
        .address_space:  global
        .offset:         16
        .size:           8
        .value_kind:     global_buffer
      - .actual_access:  read_only
        .address_space:  global
        .offset:         24
        .size:           8
        .value_kind:     global_buffer
      - .actual_access:  read_only
        .address_space:  global
        .offset:         32
        .size:           8
        .value_kind:     global_buffer
      - .address_space:  global
        .offset:         40
        .size:           8
        .value_kind:     global_buffer
    .group_segment_fixed_size: 10240
    .kernarg_segment_align: 8
    .kernarg_segment_size: 48
    .language:       OpenCL C
    .language_version:
      - 2
      - 0
    .max_flat_workgroup_size: 128
    .name:           _ZN9rocsparseL44gtsv_nopivot_strided_batch_pcr_shared_kernelILj128E21rocsparse_complex_numIdEEEviiiPKT0_S5_S5_PS3_
    .private_segment_fixed_size: 0
    .sgpr_count:     10
    .sgpr_spill_count: 0
    .symbol:         _ZN9rocsparseL44gtsv_nopivot_strided_batch_pcr_shared_kernelILj128E21rocsparse_complex_numIdEEEviiiPKT0_S5_S5_PS3_.kd
    .uniform_work_group_size: 1
    .uses_dynamic_stack: false
    .vgpr_count:     64
    .vgpr_spill_count: 0
    .wavefront_size: 32
  - .args:
      - .offset:         0
        .size:           4
        .value_kind:     by_value
      - .offset:         4
        .size:           4
        .value_kind:     by_value
      - .offset:         8
        .size:           4
        .value_kind:     by_value
      - .actual_access:  read_only
        .address_space:  global
        .offset:         16
        .size:           8
        .value_kind:     global_buffer
      - .actual_access:  read_only
        .address_space:  global
        .offset:         24
        .size:           8
        .value_kind:     global_buffer
      - .actual_access:  read_only
        .address_space:  global
        .offset:         32
        .size:           8
        .value_kind:     global_buffer
      - .address_space:  global
        .offset:         40
        .size:           8
        .value_kind:     global_buffer
    .group_segment_fixed_size: 20480
    .kernarg_segment_align: 8
    .kernarg_segment_size: 48
    .language:       OpenCL C
    .language_version:
      - 2
      - 0
    .max_flat_workgroup_size: 256
    .name:           _ZN9rocsparseL44gtsv_nopivot_strided_batch_pcr_shared_kernelILj256E21rocsparse_complex_numIdEEEviiiPKT0_S5_S5_PS3_
    .private_segment_fixed_size: 0
    .sgpr_count:     10
    .sgpr_spill_count: 0
    .symbol:         _ZN9rocsparseL44gtsv_nopivot_strided_batch_pcr_shared_kernelILj256E21rocsparse_complex_numIdEEEviiiPKT0_S5_S5_PS3_.kd
    .uniform_work_group_size: 1
    .uses_dynamic_stack: false
    .vgpr_count:     64
    .vgpr_spill_count: 0
    .wavefront_size: 32
  - .args:
      - .offset:         0
        .size:           4
        .value_kind:     by_value
      - .offset:         4
        .size:           4
        .value_kind:     by_value
      - .offset:         8
        .size:           4
        .value_kind:     by_value
      - .actual_access:  read_only
        .address_space:  global
        .offset:         16
        .size:           8
        .value_kind:     global_buffer
      - .actual_access:  read_only
        .address_space:  global
        .offset:         24
        .size:           8
        .value_kind:     global_buffer
      - .actual_access:  read_only
        .address_space:  global
        .offset:         32
        .size:           8
        .value_kind:     global_buffer
      - .address_space:  global
        .offset:         40
        .size:           8
        .value_kind:     global_buffer
    .group_segment_fixed_size: 40960
    .kernarg_segment_align: 8
    .kernarg_segment_size: 48
    .language:       OpenCL C
    .language_version:
      - 2
      - 0
    .max_flat_workgroup_size: 512
    .name:           _ZN9rocsparseL44gtsv_nopivot_strided_batch_pcr_shared_kernelILj512E21rocsparse_complex_numIdEEEviiiPKT0_S5_S5_PS3_
    .private_segment_fixed_size: 0
    .sgpr_count:     10
    .sgpr_spill_count: 0
    .symbol:         _ZN9rocsparseL44gtsv_nopivot_strided_batch_pcr_shared_kernelILj512E21rocsparse_complex_numIdEEEviiiPKT0_S5_S5_PS3_.kd
    .uniform_work_group_size: 1
    .uses_dynamic_stack: false
    .vgpr_count:     64
    .vgpr_spill_count: 0
    .wavefront_size: 32
  - .args:
      - .offset:         0
        .size:           4
        .value_kind:     by_value
      - .offset:         4
        .size:           4
        .value_kind:     by_value
      - .offset:         8
        .size:           4
        .value_kind:     by_value
      - .offset:         12
        .size:           4
        .value_kind:     by_value
      - .actual_access:  read_only
        .address_space:  global
        .offset:         16
        .size:           8
        .value_kind:     global_buffer
      - .actual_access:  read_only
        .address_space:  global
        .offset:         24
        .size:           8
        .value_kind:     global_buffer
      - .actual_access:  read_only
        .address_space:  global
        .offset:         32
        .size:           8
        .value_kind:     global_buffer
      - .actual_access:  read_only
        .address_space:  global
        .offset:         40
        .size:           8
        .value_kind:     global_buffer
      - .actual_access:  write_only
        .address_space:  global
        .offset:         48
        .size:           8
        .value_kind:     global_buffer
      - .actual_access:  write_only
        .address_space:  global
        .offset:         56
        .size:           8
        .value_kind:     global_buffer
      - .actual_access:  write_only
        .address_space:  global
        .offset:         64
        .size:           8
        .value_kind:     global_buffer
      - .actual_access:  write_only
        .address_space:  global
        .offset:         72
        .size:           8
        .value_kind:     global_buffer
    .group_segment_fixed_size: 0
    .kernarg_segment_align: 8
    .kernarg_segment_size: 80
    .language:       OpenCL C
    .language_version:
      - 2
      - 0
    .max_flat_workgroup_size: 256
    .name:           _ZN9rocsparseL49gtsv_nopivot_strided_batch_pcr_pow2_stage1_kernelILj256E21rocsparse_complex_numIdEEEviiiiPKT0_S5_S5_S5_PS3_S6_S6_S6_
    .private_segment_fixed_size: 0
    .sgpr_count:     21
    .sgpr_spill_count: 0
    .symbol:         _ZN9rocsparseL49gtsv_nopivot_strided_batch_pcr_pow2_stage1_kernelILj256E21rocsparse_complex_numIdEEEviiiiPKT0_S5_S5_S5_PS3_S6_S6_S6_.kd
    .uniform_work_group_size: 1
    .uses_dynamic_stack: false
    .vgpr_count:     62
    .vgpr_spill_count: 0
    .wavefront_size: 32
  - .args:
      - .offset:         0
        .size:           4
        .value_kind:     by_value
      - .offset:         4
        .size:           4
        .value_kind:     by_value
      - .offset:         8
        .size:           4
        .value_kind:     by_value
      - .actual_access:  read_only
        .address_space:  global
        .offset:         16
        .size:           8
        .value_kind:     global_buffer
      - .actual_access:  read_only
        .address_space:  global
        .offset:         24
        .size:           8
        .value_kind:     global_buffer
      - .actual_access:  read_only
        .address_space:  global
        .offset:         32
        .size:           8
        .value_kind:     global_buffer
      - .actual_access:  read_only
        .address_space:  global
        .offset:         40
        .size:           8
        .value_kind:     global_buffer
      - .actual_access:  write_only
        .address_space:  global
        .offset:         48
        .size:           8
        .value_kind:     global_buffer
      - .offset:         56
        .size:           4
        .value_kind:     hidden_block_count_x
      - .offset:         60
        .size:           4
        .value_kind:     hidden_block_count_y
      - .offset:         64
        .size:           4
        .value_kind:     hidden_block_count_z
      - .offset:         68
        .size:           2
        .value_kind:     hidden_group_size_x
      - .offset:         70
        .size:           2
        .value_kind:     hidden_group_size_y
      - .offset:         72
        .size:           2
        .value_kind:     hidden_group_size_z
      - .offset:         74
        .size:           2
        .value_kind:     hidden_remainder_x
      - .offset:         76
        .size:           2
        .value_kind:     hidden_remainder_y
      - .offset:         78
        .size:           2
        .value_kind:     hidden_remainder_z
      - .offset:         96
        .size:           8
        .value_kind:     hidden_global_offset_x
      - .offset:         104
        .size:           8
        .value_kind:     hidden_global_offset_y
      - .offset:         112
        .size:           8
        .value_kind:     hidden_global_offset_z
      - .offset:         120
        .size:           2
        .value_kind:     hidden_grid_dims
    .group_segment_fixed_size: 40960
    .kernarg_segment_align: 8
    .kernarg_segment_size: 312
    .language:       OpenCL C
    .language_version:
      - 2
      - 0
    .max_flat_workgroup_size: 256
    .name:           _ZN9rocsparseL48gtsv_nopivot_strided_batch_cr_pow2_stage2_kernelILj256E21rocsparse_complex_numIdEEEviiiPKT0_S5_S5_S5_PS3_
    .private_segment_fixed_size: 0
    .sgpr_count:     21
    .sgpr_spill_count: 0
    .symbol:         _ZN9rocsparseL48gtsv_nopivot_strided_batch_cr_pow2_stage2_kernelILj256E21rocsparse_complex_numIdEEEviiiPKT0_S5_S5_S5_PS3_.kd
    .uniform_work_group_size: 1
    .uses_dynamic_stack: false
    .vgpr_count:     64
    .vgpr_spill_count: 0
    .wavefront_size: 32
  - .args:
      - .offset:         0
        .size:           4
        .value_kind:     by_value
      - .offset:         4
        .size:           4
        .value_kind:     by_value
      - .offset:         8
        .size:           4
        .value_kind:     by_value
      - .offset:         12
        .size:           4
        .value_kind:     by_value
      - .actual_access:  read_only
        .address_space:  global
        .offset:         16
        .size:           8
        .value_kind:     global_buffer
      - .actual_access:  read_only
        .address_space:  global
        .offset:         24
        .size:           8
        .value_kind:     global_buffer
      - .actual_access:  read_only
        .address_space:  global
        .offset:         32
        .size:           8
        .value_kind:     global_buffer
      - .actual_access:  read_only
        .address_space:  global
        .offset:         40
        .size:           8
        .value_kind:     global_buffer
      - .actual_access:  write_only
        .address_space:  global
        .offset:         48
        .size:           8
        .value_kind:     global_buffer
      - .actual_access:  write_only
        .address_space:  global
        .offset:         56
        .size:           8
        .value_kind:     global_buffer
      - .actual_access:  write_only
        .address_space:  global
        .offset:         64
        .size:           8
        .value_kind:     global_buffer
      - .actual_access:  write_only
        .address_space:  global
        .offset:         72
        .size:           8
        .value_kind:     global_buffer
    .group_segment_fixed_size: 0
    .kernarg_segment_align: 8
    .kernarg_segment_size: 80
    .language:       OpenCL C
    .language_version:
      - 2
      - 0
    .max_flat_workgroup_size: 256
    .name:           _ZN9rocsparseL44gtsv_nopivot_strided_batch_pcr_stage1_kernelILj256E21rocsparse_complex_numIdEEEviiiiPKT0_S5_S5_S5_PS3_S6_S6_S6_
    .private_segment_fixed_size: 0
    .sgpr_count:     18
    .sgpr_spill_count: 0
    .symbol:         _ZN9rocsparseL44gtsv_nopivot_strided_batch_pcr_stage1_kernelILj256E21rocsparse_complex_numIdEEEviiiiPKT0_S5_S5_S5_PS3_S6_S6_S6_.kd
    .uniform_work_group_size: 1
    .uses_dynamic_stack: false
    .vgpr_count:     63
    .vgpr_spill_count: 0
    .wavefront_size: 32
  - .args:
      - .offset:         0
        .size:           4
        .value_kind:     by_value
      - .offset:         4
        .size:           4
        .value_kind:     by_value
      - .offset:         8
        .size:           4
        .value_kind:     by_value
      - .actual_access:  read_only
        .address_space:  global
        .offset:         16
        .size:           8
        .value_kind:     global_buffer
      - .actual_access:  read_only
        .address_space:  global
        .offset:         24
        .size:           8
        .value_kind:     global_buffer
      - .actual_access:  read_only
        .address_space:  global
        .offset:         32
        .size:           8
        .value_kind:     global_buffer
      - .actual_access:  read_only
        .address_space:  global
        .offset:         40
        .size:           8
        .value_kind:     global_buffer
      - .actual_access:  write_only
        .address_space:  global
        .offset:         48
        .size:           8
        .value_kind:     global_buffer
      - .offset:         56
        .size:           4
        .value_kind:     hidden_block_count_x
      - .offset:         60
        .size:           4
        .value_kind:     hidden_block_count_y
      - .offset:         64
        .size:           4
        .value_kind:     hidden_block_count_z
      - .offset:         68
        .size:           2
        .value_kind:     hidden_group_size_x
      - .offset:         70
        .size:           2
        .value_kind:     hidden_group_size_y
      - .offset:         72
        .size:           2
        .value_kind:     hidden_group_size_z
      - .offset:         74
        .size:           2
        .value_kind:     hidden_remainder_x
      - .offset:         76
        .size:           2
        .value_kind:     hidden_remainder_y
      - .offset:         78
        .size:           2
        .value_kind:     hidden_remainder_z
      - .offset:         96
        .size:           8
        .value_kind:     hidden_global_offset_x
      - .offset:         104
        .size:           8
        .value_kind:     hidden_global_offset_y
      - .offset:         112
        .size:           8
        .value_kind:     hidden_global_offset_z
      - .offset:         120
        .size:           2
        .value_kind:     hidden_grid_dims
    .group_segment_fixed_size: 40960
    .kernarg_segment_align: 8
    .kernarg_segment_size: 312
    .language:       OpenCL C
    .language_version:
      - 2
      - 0
    .max_flat_workgroup_size: 512
    .name:           _ZN9rocsparseL44gtsv_nopivot_strided_batch_pcr_stage2_kernelILj512E21rocsparse_complex_numIdEEEviiiPKT0_S5_S5_S5_PS3_
    .private_segment_fixed_size: 0
    .sgpr_count:     19
    .sgpr_spill_count: 0
    .symbol:         _ZN9rocsparseL44gtsv_nopivot_strided_batch_pcr_stage2_kernelILj512E21rocsparse_complex_numIdEEEviiiPKT0_S5_S5_S5_PS3_.kd
    .uniform_work_group_size: 1
    .uses_dynamic_stack: false
    .vgpr_count:     62
    .vgpr_spill_count: 0
    .wavefront_size: 32
amdhsa.target:   amdgcn-amd-amdhsa--gfx1250
amdhsa.version:
  - 1
  - 2
...

	.end_amdgpu_metadata
